;; amdgpu-corpus repo=ROCm/rocFFT kind=compiled arch=gfx906 opt=O3
	.text
	.amdgcn_target "amdgcn-amd-amdhsa--gfx906"
	.amdhsa_code_object_version 6
	.protected	fft_rtc_back_len1122_factors_17_11_6_wgs_204_tpt_102_halfLds_sp_op_CI_CI_unitstride_sbrr_C2R_dirReg ; -- Begin function fft_rtc_back_len1122_factors_17_11_6_wgs_204_tpt_102_halfLds_sp_op_CI_CI_unitstride_sbrr_C2R_dirReg
	.globl	fft_rtc_back_len1122_factors_17_11_6_wgs_204_tpt_102_halfLds_sp_op_CI_CI_unitstride_sbrr_C2R_dirReg
	.p2align	8
	.type	fft_rtc_back_len1122_factors_17_11_6_wgs_204_tpt_102_halfLds_sp_op_CI_CI_unitstride_sbrr_C2R_dirReg,@function
fft_rtc_back_len1122_factors_17_11_6_wgs_204_tpt_102_halfLds_sp_op_CI_CI_unitstride_sbrr_C2R_dirReg: ; @fft_rtc_back_len1122_factors_17_11_6_wgs_204_tpt_102_halfLds_sp_op_CI_CI_unitstride_sbrr_C2R_dirReg
; %bb.0:
	s_load_dwordx4 s[8:11], s[4:5], 0x58
	s_load_dwordx4 s[12:15], s[4:5], 0x0
	;; [unrolled: 1-line block ×3, first 2 shown]
	v_mul_u32_u24_e32 v1, 0x283, v0
	v_lshrrev_b32_e32 v7, 16, v1
	v_mov_b32_e32 v3, 0
	s_waitcnt lgkmcnt(0)
	v_cmp_lt_u64_e64 s[0:1], s[14:15], 2
	v_mov_b32_e32 v1, 0
	v_lshl_add_u32 v5, s6, 1, v7
	v_mov_b32_e32 v6, v3
	s_and_b64 vcc, exec, s[0:1]
	v_mov_b32_e32 v2, 0
	s_cbranch_vccnz .LBB0_8
; %bb.1:
	s_load_dwordx2 s[0:1], s[4:5], 0x10
	s_add_u32 s2, s18, 8
	s_addc_u32 s3, s19, 0
	s_add_u32 s6, s16, 8
	v_mov_b32_e32 v1, 0
	s_addc_u32 s7, s17, 0
	v_mov_b32_e32 v2, 0
	s_waitcnt lgkmcnt(0)
	s_add_u32 s20, s0, 8
	v_mov_b32_e32 v37, v2
	s_addc_u32 s21, s1, 0
	s_mov_b64 s[22:23], 1
	v_mov_b32_e32 v36, v1
.LBB0_2:                                ; =>This Inner Loop Header: Depth=1
	s_load_dwordx2 s[24:25], s[20:21], 0x0
                                        ; implicit-def: $vgpr38_vgpr39
	s_waitcnt lgkmcnt(0)
	v_or_b32_e32 v4, s25, v6
	v_cmp_ne_u64_e32 vcc, 0, v[3:4]
	s_and_saveexec_b64 s[0:1], vcc
	s_xor_b64 s[26:27], exec, s[0:1]
	s_cbranch_execz .LBB0_4
; %bb.3:                                ;   in Loop: Header=BB0_2 Depth=1
	v_cvt_f32_u32_e32 v4, s24
	v_cvt_f32_u32_e32 v8, s25
	s_sub_u32 s0, 0, s24
	s_subb_u32 s1, 0, s25
	v_mac_f32_e32 v4, 0x4f800000, v8
	v_rcp_f32_e32 v4, v4
	v_mul_f32_e32 v4, 0x5f7ffffc, v4
	v_mul_f32_e32 v8, 0x2f800000, v4
	v_trunc_f32_e32 v8, v8
	v_mac_f32_e32 v4, 0xcf800000, v8
	v_cvt_u32_f32_e32 v8, v8
	v_cvt_u32_f32_e32 v4, v4
	v_mul_lo_u32 v9, s0, v8
	v_mul_hi_u32 v10, s0, v4
	v_mul_lo_u32 v12, s1, v4
	v_mul_lo_u32 v11, s0, v4
	v_add_u32_e32 v9, v10, v9
	v_add_u32_e32 v9, v9, v12
	v_mul_hi_u32 v10, v4, v11
	v_mul_lo_u32 v12, v4, v9
	v_mul_hi_u32 v14, v4, v9
	v_mul_hi_u32 v13, v8, v11
	v_mul_lo_u32 v11, v8, v11
	v_mul_hi_u32 v15, v8, v9
	v_add_co_u32_e32 v10, vcc, v10, v12
	v_addc_co_u32_e32 v12, vcc, 0, v14, vcc
	v_mul_lo_u32 v9, v8, v9
	v_add_co_u32_e32 v10, vcc, v10, v11
	v_addc_co_u32_e32 v10, vcc, v12, v13, vcc
	v_addc_co_u32_e32 v11, vcc, 0, v15, vcc
	v_add_co_u32_e32 v9, vcc, v10, v9
	v_addc_co_u32_e32 v10, vcc, 0, v11, vcc
	v_add_co_u32_e32 v4, vcc, v4, v9
	v_addc_co_u32_e32 v8, vcc, v8, v10, vcc
	v_mul_lo_u32 v9, s0, v8
	v_mul_hi_u32 v10, s0, v4
	v_mul_lo_u32 v11, s1, v4
	v_mul_lo_u32 v12, s0, v4
	v_add_u32_e32 v9, v10, v9
	v_add_u32_e32 v9, v9, v11
	v_mul_lo_u32 v13, v4, v9
	v_mul_hi_u32 v14, v4, v12
	v_mul_hi_u32 v15, v4, v9
	;; [unrolled: 1-line block ×3, first 2 shown]
	v_mul_lo_u32 v12, v8, v12
	v_mul_hi_u32 v10, v8, v9
	v_add_co_u32_e32 v13, vcc, v14, v13
	v_addc_co_u32_e32 v14, vcc, 0, v15, vcc
	v_mul_lo_u32 v9, v8, v9
	v_add_co_u32_e32 v12, vcc, v13, v12
	v_addc_co_u32_e32 v11, vcc, v14, v11, vcc
	v_addc_co_u32_e32 v10, vcc, 0, v10, vcc
	v_add_co_u32_e32 v9, vcc, v11, v9
	v_addc_co_u32_e32 v10, vcc, 0, v10, vcc
	v_add_co_u32_e32 v4, vcc, v4, v9
	v_addc_co_u32_e32 v10, vcc, v8, v10, vcc
	v_mad_u64_u32 v[8:9], s[0:1], v5, v10, 0
	v_mul_hi_u32 v11, v5, v4
	v_add_co_u32_e32 v12, vcc, v11, v8
	v_addc_co_u32_e32 v13, vcc, 0, v9, vcc
	v_mad_u64_u32 v[8:9], s[0:1], v6, v4, 0
	v_mad_u64_u32 v[10:11], s[0:1], v6, v10, 0
	v_add_co_u32_e32 v4, vcc, v12, v8
	v_addc_co_u32_e32 v4, vcc, v13, v9, vcc
	v_addc_co_u32_e32 v8, vcc, 0, v11, vcc
	v_add_co_u32_e32 v4, vcc, v4, v10
	v_addc_co_u32_e32 v10, vcc, 0, v8, vcc
	v_mul_lo_u32 v11, s25, v4
	v_mul_lo_u32 v12, s24, v10
	v_mad_u64_u32 v[8:9], s[0:1], s24, v4, 0
	v_add3_u32 v9, v9, v12, v11
	v_sub_u32_e32 v11, v6, v9
	v_mov_b32_e32 v12, s25
	v_sub_co_u32_e32 v8, vcc, v5, v8
	v_subb_co_u32_e64 v11, s[0:1], v11, v12, vcc
	v_subrev_co_u32_e64 v12, s[0:1], s24, v8
	v_subbrev_co_u32_e64 v11, s[0:1], 0, v11, s[0:1]
	v_cmp_le_u32_e64 s[0:1], s25, v11
	v_cndmask_b32_e64 v13, 0, -1, s[0:1]
	v_cmp_le_u32_e64 s[0:1], s24, v12
	v_cndmask_b32_e64 v12, 0, -1, s[0:1]
	v_cmp_eq_u32_e64 s[0:1], s25, v11
	v_cndmask_b32_e64 v11, v13, v12, s[0:1]
	v_add_co_u32_e64 v12, s[0:1], 2, v4
	v_addc_co_u32_e64 v13, s[0:1], 0, v10, s[0:1]
	v_add_co_u32_e64 v14, s[0:1], 1, v4
	v_addc_co_u32_e64 v15, s[0:1], 0, v10, s[0:1]
	v_subb_co_u32_e32 v9, vcc, v6, v9, vcc
	v_cmp_ne_u32_e64 s[0:1], 0, v11
	v_cmp_le_u32_e32 vcc, s25, v9
	v_cndmask_b32_e64 v11, v15, v13, s[0:1]
	v_cndmask_b32_e64 v13, 0, -1, vcc
	v_cmp_le_u32_e32 vcc, s24, v8
	v_cndmask_b32_e64 v8, 0, -1, vcc
	v_cmp_eq_u32_e32 vcc, s25, v9
	v_cndmask_b32_e32 v8, v13, v8, vcc
	v_cmp_ne_u32_e32 vcc, 0, v8
	v_cndmask_b32_e64 v8, v14, v12, s[0:1]
	v_cndmask_b32_e32 v39, v10, v11, vcc
	v_cndmask_b32_e32 v38, v4, v8, vcc
.LBB0_4:                                ;   in Loop: Header=BB0_2 Depth=1
	s_andn2_saveexec_b64 s[0:1], s[26:27]
	s_cbranch_execz .LBB0_6
; %bb.5:                                ;   in Loop: Header=BB0_2 Depth=1
	v_cvt_f32_u32_e32 v4, s24
	s_sub_i32 s26, 0, s24
	v_mov_b32_e32 v39, v3
	v_rcp_iflag_f32_e32 v4, v4
	v_mul_f32_e32 v4, 0x4f7ffffe, v4
	v_cvt_u32_f32_e32 v4, v4
	v_mul_lo_u32 v8, s26, v4
	v_mul_hi_u32 v8, v4, v8
	v_add_u32_e32 v4, v4, v8
	v_mul_hi_u32 v4, v5, v4
	v_mul_lo_u32 v8, v4, s24
	v_add_u32_e32 v9, 1, v4
	v_sub_u32_e32 v8, v5, v8
	v_subrev_u32_e32 v10, s24, v8
	v_cmp_le_u32_e32 vcc, s24, v8
	v_cndmask_b32_e32 v8, v8, v10, vcc
	v_cndmask_b32_e32 v4, v4, v9, vcc
	v_add_u32_e32 v9, 1, v4
	v_cmp_le_u32_e32 vcc, s24, v8
	v_cndmask_b32_e32 v38, v4, v9, vcc
.LBB0_6:                                ;   in Loop: Header=BB0_2 Depth=1
	s_or_b64 exec, exec, s[0:1]
	v_mul_lo_u32 v4, v39, s24
	v_mul_lo_u32 v10, v38, s25
	v_mad_u64_u32 v[8:9], s[0:1], v38, s24, 0
	s_load_dwordx2 s[0:1], s[6:7], 0x0
	s_load_dwordx2 s[24:25], s[2:3], 0x0
	v_add3_u32 v4, v9, v10, v4
	v_sub_co_u32_e32 v5, vcc, v5, v8
	v_subb_co_u32_e32 v4, vcc, v6, v4, vcc
	s_waitcnt lgkmcnt(0)
	v_mul_lo_u32 v6, s0, v4
	v_mul_lo_u32 v8, s1, v5
	v_mad_u64_u32 v[1:2], s[0:1], s0, v5, v[1:2]
	v_mul_lo_u32 v4, s24, v4
	v_mul_lo_u32 v9, s25, v5
	v_mad_u64_u32 v[36:37], s[0:1], s24, v5, v[36:37]
	s_add_u32 s22, s22, 1
	s_addc_u32 s23, s23, 0
	s_add_u32 s2, s2, 8
	v_add3_u32 v37, v9, v37, v4
	s_addc_u32 s3, s3, 0
	v_mov_b32_e32 v4, s14
	s_add_u32 s6, s6, 8
	v_mov_b32_e32 v5, s15
	s_addc_u32 s7, s7, 0
	v_cmp_ge_u64_e32 vcc, s[22:23], v[4:5]
	s_add_u32 s20, s20, 8
	v_add3_u32 v2, v8, v2, v6
	s_addc_u32 s21, s21, 0
	s_cbranch_vccnz .LBB0_9
; %bb.7:                                ;   in Loop: Header=BB0_2 Depth=1
	v_mov_b32_e32 v5, v38
	v_mov_b32_e32 v6, v39
	s_branch .LBB0_2
.LBB0_8:
	v_mov_b32_e32 v37, v2
	v_mov_b32_e32 v39, v6
	;; [unrolled: 1-line block ×4, first 2 shown]
.LBB0_9:
	s_load_dwordx2 s[2:3], s[4:5], 0x28
	s_lshl_b64 s[6:7], s[14:15], 3
	s_add_u32 s14, s18, s6
	v_and_b32_e32 v3, 1, v7
	s_addc_u32 s15, s19, s7
	s_waitcnt lgkmcnt(0)
	v_cmp_gt_u64_e64 s[0:1], s[2:3], v[38:39]
	v_cmp_le_u64_e64 s[2:3], s[2:3], v[38:39]
	v_cmp_eq_u32_e32 vcc, 1, v3
	v_mov_b32_e32 v3, 0x463
                                        ; implicit-def: $vgpr40
	s_and_saveexec_b64 s[4:5], s[2:3]
	s_xor_b64 s[2:3], exec, s[4:5]
; %bb.10:
	s_mov_b32 s4, 0x2828283
	v_mul_hi_u32 v1, v0, s4
	v_mul_u32_u24_e32 v1, 0x66, v1
	v_sub_u32_e32 v40, v0, v1
                                        ; implicit-def: $vgpr0
                                        ; implicit-def: $vgpr1_vgpr2
; %bb.11:
	s_or_saveexec_b64 s[4:5], s[2:3]
	s_load_dwordx2 s[2:3], s[14:15], 0x0
	v_cndmask_b32_e32 v3, 0, v3, vcc
	v_lshlrev_b32_e32 v49, 3, v3
	s_xor_b64 exec, exec, s[4:5]
	s_cbranch_execz .LBB0_15
; %bb.12:
	s_add_u32 s6, s16, s6
	s_addc_u32 s7, s17, s7
	s_load_dwordx2 s[6:7], s[6:7], 0x0
	s_mov_b32 s14, 0x2828283
	v_mul_hi_u32 v6, v0, s14
	v_lshlrev_b64 v[1:2], 3, v[1:2]
	s_waitcnt lgkmcnt(0)
	v_mul_lo_u32 v7, s7, v38
	v_mul_lo_u32 v8, s6, v39
	v_mad_u64_u32 v[4:5], s[6:7], s6, v38, 0
	v_mul_u32_u24_e32 v6, 0x66, v6
	v_sub_u32_e32 v40, v0, v6
	v_add3_u32 v5, v5, v8, v7
	v_lshlrev_b64 v[4:5], 3, v[4:5]
	v_mov_b32_e32 v0, s9
	v_add_co_u32_e32 v4, vcc, s8, v4
	v_addc_co_u32_e32 v0, vcc, v0, v5, vcc
	v_add_co_u32_e32 v1, vcc, v4, v1
	v_addc_co_u32_e32 v0, vcc, v0, v2, vcc
	v_lshlrev_b32_e32 v2, 3, v40
	v_add_co_u32_e32 v4, vcc, v1, v2
	v_addc_co_u32_e32 v5, vcc, 0, v0, vcc
	s_movk_i32 s6, 0x1000
	v_add_co_u32_e32 v14, vcc, s6, v4
	global_load_dwordx2 v[6:7], v[4:5], off
	global_load_dwordx2 v[8:9], v[4:5], off offset:816
	global_load_dwordx2 v[10:11], v[4:5], off offset:1632
	;; [unrolled: 1-line block ×3, first 2 shown]
	v_addc_co_u32_e32 v15, vcc, 0, v5, vcc
	global_load_dwordx2 v[16:17], v[4:5], off offset:3264
	global_load_dwordx2 v[18:19], v[4:5], off offset:4080
	;; [unrolled: 1-line block ×7, first 2 shown]
	s_movk_i32 s6, 0x65
	v_add3_u32 v2, 0, v49, v2
	v_cmp_eq_u32_e32 vcc, s6, v40
	v_add_u32_e32 v4, 0x400, v2
	v_add_u32_e32 v5, 0x800, v2
	;; [unrolled: 1-line block ×4, first 2 shown]
	s_waitcnt vmcnt(9)
	ds_write2_b64 v2, v[6:7], v[8:9] offset1:102
	s_waitcnt vmcnt(7)
	ds_write2_b64 v4, v[10:11], v[12:13] offset0:76 offset1:178
	s_waitcnt vmcnt(5)
	ds_write2_b64 v5, v[16:17], v[18:19] offset0:152 offset1:254
	;; [unrolled: 2-line block ×4, first 2 shown]
	s_waitcnt vmcnt(0)
	ds_write_b64 v2, v[28:29] offset:8160
	s_and_saveexec_b64 s[6:7], vcc
	s_cbranch_execz .LBB0_14
; %bb.13:
	v_add_co_u32_e32 v4, vcc, 0x2000, v1
	v_addc_co_u32_e32 v5, vcc, 0, v0, vcc
	global_load_dwordx2 v[0:1], v[4:5], off offset:784
	v_mov_b32_e32 v40, 0x65
	s_waitcnt vmcnt(0)
	ds_write_b64 v2, v[0:1] offset:8168
.LBB0_14:
	s_or_b64 exec, exec, s[6:7]
.LBB0_15:
	s_or_b64 exec, exec, s[4:5]
	v_lshl_add_u32 v47, v3, 3, 0
	v_lshlrev_b32_e32 v4, 3, v40
	v_add_u32_e32 v50, v47, v4
	s_waitcnt lgkmcnt(0)
	s_barrier
	v_sub_u32_e32 v5, v47, v4
	ds_read_b32 v1, v50
	ds_read_b32 v2, v5 offset:8976
	s_add_u32 s6, s12, 0x2288
	s_addc_u32 s7, s13, 0
	v_cmp_ne_u32_e32 vcc, 0, v40
	s_waitcnt lgkmcnt(0)
	v_add_f32_e32 v0, v2, v1
	v_sub_f32_e32 v1, v1, v2
                                        ; implicit-def: $vgpr2_vgpr3
	s_and_saveexec_b64 s[4:5], vcc
	s_xor_b64 s[4:5], exec, s[4:5]
	s_cbranch_execz .LBB0_17
; %bb.16:
	v_mov_b32_e32 v41, 0
	v_lshlrev_b64 v[2:3], 3, v[40:41]
	v_mov_b32_e32 v6, s7
	v_add_co_u32_e32 v2, vcc, s6, v2
	v_addc_co_u32_e32 v3, vcc, v6, v3, vcc
	global_load_dwordx2 v[2:3], v[2:3], off
	ds_read_b32 v6, v5 offset:8980
	ds_read_b32 v7, v50 offset:4
	s_waitcnt lgkmcnt(0)
	v_add_f32_e32 v10, v6, v7
	v_sub_f32_e32 v6, v7, v6
	s_waitcnt vmcnt(0)
	v_fma_f32 v11, v1, v3, v0
	v_fma_f32 v7, v10, v3, v6
	v_fma_f32 v8, -v1, v3, v0
	v_fma_f32 v9, v10, v3, -v6
	v_fma_f32 v6, -v2, v10, v11
	v_fmac_f32_e32 v7, v1, v2
	v_fmac_f32_e32 v8, v2, v10
	;; [unrolled: 1-line block ×3, first 2 shown]
	v_mov_b32_e32 v2, v40
	ds_write_b64 v50, v[6:7]
	ds_write_b64 v5, v[8:9] offset:8976
	v_mov_b32_e32 v3, v41
                                        ; implicit-def: $vgpr0
.LBB0_17:
	s_andn2_saveexec_b64 s[4:5], s[4:5]
	s_cbranch_execz .LBB0_19
; %bb.18:
	ds_write_b64 v50, v[0:1]
	ds_read_b64 v[0:1], v47 offset:4488
	v_mov_b32_e32 v2, 0
	v_mov_b32_e32 v3, 0
	s_waitcnt lgkmcnt(0)
	v_add_f32_e32 v0, v0, v0
	v_mul_f32_e32 v1, -2.0, v1
	ds_write_b64 v47, v[0:1] offset:4488
.LBB0_19:
	s_or_b64 exec, exec, s[4:5]
	v_lshlrev_b64 v[0:1], 3, v[2:3]
	v_mov_b32_e32 v2, s7
	v_add_co_u32_e32 v0, vcc, s6, v0
	v_addc_co_u32_e32 v1, vcc, v2, v1, vcc
	global_load_dwordx2 v[2:3], v[0:1], off offset:816
	global_load_dwordx2 v[6:7], v[0:1], off offset:1632
	;; [unrolled: 1-line block ×4, first 2 shown]
	ds_read_b64 v[12:13], v50 offset:816
	ds_read_b64 v[14:15], v5 offset:8160
	v_cmp_gt_u32_e32 vcc, 51, v40
	s_waitcnt lgkmcnt(0)
	v_add_f32_e32 v16, v12, v14
	v_add_f32_e32 v17, v15, v13
	v_sub_f32_e32 v18, v12, v14
	v_sub_f32_e32 v14, v13, v15
	s_waitcnt vmcnt(3)
	v_fma_f32 v19, v18, v3, v16
	v_fma_f32 v15, v17, v3, v14
	v_fma_f32 v12, -v18, v3, v16
	v_fma_f32 v13, v17, v3, -v14
	v_fma_f32 v14, -v2, v17, v19
	v_fmac_f32_e32 v15, v18, v2
	v_fmac_f32_e32 v12, v2, v17
	v_fmac_f32_e32 v13, v18, v2
	ds_write_b64 v50, v[14:15] offset:816
	ds_write_b64 v5, v[12:13] offset:8160
	ds_read_b64 v[2:3], v50 offset:1632
	ds_read_b64 v[12:13], v5 offset:7344
	s_waitcnt lgkmcnt(0)
	v_add_f32_e32 v14, v2, v12
	v_add_f32_e32 v15, v13, v3
	v_sub_f32_e32 v16, v2, v12
	v_sub_f32_e32 v2, v3, v13
	s_waitcnt vmcnt(2)
	v_fma_f32 v17, v16, v7, v14
	v_fma_f32 v3, v15, v7, v2
	v_fma_f32 v12, -v16, v7, v14
	v_fma_f32 v13, v15, v7, -v2
	v_fma_f32 v2, -v6, v15, v17
	v_fmac_f32_e32 v3, v16, v6
	v_fmac_f32_e32 v12, v6, v15
	v_fmac_f32_e32 v13, v16, v6
	ds_write_b64 v50, v[2:3] offset:1632
	ds_write_b64 v5, v[12:13] offset:7344
	ds_read_b64 v[2:3], v50 offset:2448
	ds_read_b64 v[6:7], v5 offset:6528
	;; [unrolled: 18-line block ×3, first 2 shown]
	s_waitcnt lgkmcnt(0)
	v_add_f32_e32 v8, v2, v6
	v_add_f32_e32 v9, v7, v3
	v_sub_f32_e32 v12, v2, v6
	v_sub_f32_e32 v2, v3, v7
	s_waitcnt vmcnt(0)
	v_fma_f32 v13, v12, v11, v8
	v_fma_f32 v3, v9, v11, v2
	v_fma_f32 v6, -v12, v11, v8
	v_fma_f32 v7, v9, v11, -v2
	v_fma_f32 v2, -v10, v9, v13
	v_fmac_f32_e32 v3, v12, v10
	v_fmac_f32_e32 v6, v10, v9
	;; [unrolled: 1-line block ×3, first 2 shown]
	ds_write_b64 v50, v[2:3] offset:3264
	ds_write_b64 v5, v[6:7] offset:5712
	s_and_saveexec_b64 s[4:5], vcc
	s_cbranch_execz .LBB0_21
; %bb.20:
	global_load_dwordx2 v[0:1], v[0:1], off offset:4080
	ds_read_b64 v[2:3], v50 offset:4080
	ds_read_b64 v[6:7], v5 offset:4896
	s_waitcnt lgkmcnt(0)
	v_add_f32_e32 v8, v2, v6
	v_add_f32_e32 v9, v7, v3
	v_sub_f32_e32 v10, v2, v6
	v_sub_f32_e32 v3, v3, v7
	s_waitcnt vmcnt(0)
	v_fma_f32 v11, v10, v1, v8
	v_fma_f32 v2, v9, v1, v3
	v_fma_f32 v6, -v10, v1, v8
	v_fma_f32 v7, v9, v1, -v3
	v_fma_f32 v1, -v0, v9, v11
	v_fmac_f32_e32 v2, v10, v0
	v_fmac_f32_e32 v6, v0, v9
	;; [unrolled: 1-line block ×3, first 2 shown]
	ds_write_b64 v50, v[1:2] offset:4080
	ds_write_b64 v5, v[6:7] offset:4896
.LBB0_21:
	s_or_b64 exec, exec, s[4:5]
	v_add3_u32 v48, 0, v4, v49
	s_waitcnt lgkmcnt(0)
	s_barrier
	s_barrier
	ds_read2_b64 v[16:19], v48 offset0:66 offset1:132
	v_add_u32_e32 v0, 0x1c00, v48
	ds_read2_b64 v[4:7], v0 offset0:94 offset1:160
	ds_read_b64 v[0:1], v50
	v_add_u32_e32 v51, 0x400, v48
	v_add_u32_e32 v53, 0x1800, v48
	ds_read2_b64 v[24:27], v51 offset0:70 offset1:136
	ds_read2_b64 v[8:11], v53 offset0:90 offset1:156
	s_waitcnt lgkmcnt(3)
	v_sub_f32_e32 v72, v17, v7
	v_add_f32_e32 v56, v6, v16
	s_mov_b32 s6, 0xbf1a4643
	v_mul_f32_e32 v45, 0xbf4c4adb, v72
	v_sub_f32_e32 v73, v19, v5
	v_add_f32_e32 v74, v7, v17
	v_fma_f32 v2, v56, s6, -v45
	v_add_f32_e32 v57, v4, v18
	s_mov_b32 s7, 0xbe8c1d8e
	v_mul_f32_e32 v46, 0x3f763a35, v73
	s_waitcnt lgkmcnt(2)
	v_add_f32_e32 v2, v0, v2
	v_fma_f32 v3, v57, s7, -v46
	v_mul_f32_e32 v122, 0xbf1a4643, v74
	v_add_f32_e32 v76, v5, v19
	v_add_f32_e32 v2, v3, v2
	v_sub_f32_e32 v59, v16, v6
	v_mov_b32_e32 v3, v122
	v_mul_f32_e32 v123, 0xbe8c1d8e, v76
	v_fmac_f32_e32 v3, 0xbf4c4adb, v59
	v_sub_f32_e32 v60, v18, v4
	v_mov_b32_e32 v12, v123
	s_waitcnt lgkmcnt(0)
	v_sub_f32_e32 v75, v25, v11
	v_add_f32_e32 v3, v1, v3
	v_fmac_f32_e32 v12, 0x3f763a35, v60
	s_mov_b32 s8, 0x3f6eb680
	v_add_f32_e32 v58, v10, v24
	v_mul_f32_e32 v120, 0xbeb8f4ab, v75
	v_add_f32_e32 v78, v11, v25
	v_add_f32_e32 v3, v12, v3
	v_fma_f32 v12, v58, s8, -v120
	v_mul_f32_e32 v125, 0x3f6eb680, v78
	v_add_f32_e32 v2, v12, v2
	v_sub_f32_e32 v62, v24, v10
	v_mov_b32_e32 v12, v125
	v_sub_f32_e32 v77, v27, v9
	v_fmac_f32_e32 v12, 0xbeb8f4ab, v62
	s_mov_b32 s9, 0xbf59a7d5
	v_add_f32_e32 v61, v8, v26
	v_mul_f32_e32 v121, 0xbf06c442, v77
	v_add_f32_e32 v3, v12, v3
	v_fma_f32 v12, v61, s9, -v121
	v_add_f32_e32 v2, v12, v2
	v_add_u32_e32 v12, 0x1400, v48
	v_add_u32_e32 v54, 0x800, v48
	ds_read2_b64 v[12:15], v12 offset0:86 offset1:152
	ds_read2_b64 v[28:31], v54 offset0:74 offset1:140
	v_add_f32_e32 v80, v9, v27
	v_mul_f32_e32 v127, 0xbf59a7d5, v80
	v_sub_f32_e32 v64, v26, v8
	v_mov_b32_e32 v20, v127
	s_waitcnt lgkmcnt(0)
	v_sub_f32_e32 v79, v29, v15
	v_fmac_f32_e32 v20, 0xbf06c442, v64
	s_mov_b32 s14, 0x3dbcf732
	v_add_f32_e32 v63, v14, v28
	v_mul_f32_e32 v124, 0x3f7ee86f, v79
	v_add_f32_e32 v82, v15, v29
	v_add_f32_e32 v3, v20, v3
	v_fma_f32 v20, v63, s14, -v124
	v_mul_f32_e32 v129, 0x3dbcf732, v82
	v_add_f32_e32 v2, v20, v2
	v_sub_f32_e32 v66, v28, v14
	v_mov_b32_e32 v20, v129
	v_sub_f32_e32 v81, v31, v13
	v_fmac_f32_e32 v20, 0x3f7ee86f, v66
	s_mov_b32 s15, 0x3f3d2fb0
	v_add_f32_e32 v65, v12, v30
	v_mul_f32_e32 v126, 0xbf2c7751, v81
	v_add_f32_e32 v3, v20, v3
	v_fma_f32 v20, v65, s15, -v126
	v_add_u32_e32 v55, 0xc00, v48
	v_add_f32_e32 v2, v20, v2
	v_add_u32_e32 v52, 0x1000, v48
	ds_read2_b64 v[32:35], v55 offset0:78 offset1:144
	ds_read2_b64 v[20:23], v52 offset0:82 offset1:148
	v_add_f32_e32 v84, v13, v31
	v_mul_f32_e32 v130, 0x3f3d2fb0, v84
	v_sub_f32_e32 v68, v30, v12
	v_mov_b32_e32 v41, v130
	s_waitcnt lgkmcnt(0)
	v_sub_f32_e32 v83, v33, v23
	v_fmac_f32_e32 v41, 0xbf2c7751, v68
	s_mov_b32 s16, 0xbf7ba420
	v_add_f32_e32 v67, v22, v32
	v_mul_f32_e32 v128, 0xbe3c28d5, v83
	v_add_f32_e32 v87, v23, v33
	v_add_f32_e32 v3, v41, v3
	v_fma_f32 v41, v67, s16, -v128
	v_mul_f32_e32 v132, 0xbf7ba420, v87
	v_add_f32_e32 v2, v41, v2
	v_sub_f32_e32 v70, v32, v22
	v_mov_b32_e32 v41, v132
	v_add_f32_e32 v85, v21, v35
	v_fmac_f32_e32 v41, 0xbe3c28d5, v70
	v_mul_f32_e32 v133, 0x3ee437d1, v85
	v_sub_f32_e32 v86, v35, v21
	v_add_f32_e32 v3, v41, v3
	s_mov_b32 s17, 0x3ee437d1
	v_sub_f32_e32 v71, v34, v20
	v_mov_b32_e32 v41, v133
	v_add_f32_e32 v69, v20, v34
	v_mul_f32_e32 v131, 0x3f65296c, v86
	v_fmac_f32_e32 v41, 0x3f65296c, v71
	v_fma_f32 v42, v69, s17, -v131
	s_movk_i32 s4, 0x42
	v_add_f32_e32 v2, v42, v2
	v_add_f32_e32 v3, v41, v3
	v_cmp_gt_u32_e32 vcc, s4, v40
	s_barrier
	s_and_saveexec_b64 s[4:5], vcc
	s_cbranch_execz .LBB0_23
; %bb.22:
	v_mul_f32_e32 v89, 0xbf7ba420, v74
	v_mov_b32_e32 v41, v89
	v_mul_f32_e32 v90, 0x3f6eb680, v76
	v_fmac_f32_e32 v41, 0x3e3c28d5, v59
	v_mov_b32_e32 v42, v90
	v_add_f32_e32 v41, v1, v41
	v_fmac_f32_e32 v42, 0xbeb8f4ab, v60
	v_mul_f32_e32 v91, 0xbf59a7d5, v78
	v_add_f32_e32 v41, v42, v41
	v_mov_b32_e32 v42, v91
	v_fmac_f32_e32 v42, 0x3f06c442, v62
	v_mul_f32_e32 v92, 0x3f3d2fb0, v80
	v_add_f32_e32 v41, v42, v41
	v_mov_b32_e32 v42, v92
	;; [unrolled: 4-line block ×7, first 2 shown]
	v_mul_f32_e32 v97, 0x3eb8f4ab, v73
	v_fmac_f32_e32 v41, 0xbf7ba420, v56
	v_mov_b32_e32 v43, v97
	v_add_f32_e32 v41, v0, v41
	v_fmac_f32_e32 v43, 0x3f6eb680, v57
	v_mul_f32_e32 v98, 0xbf06c442, v75
	v_add_f32_e32 v41, v43, v41
	v_mov_b32_e32 v43, v98
	v_fmac_f32_e32 v43, 0xbf59a7d5, v58
	v_mul_f32_e32 v99, 0x3f2c7751, v77
	v_add_f32_e32 v41, v43, v41
	v_mov_b32_e32 v43, v99
	;; [unrolled: 4-line block ×7, first 2 shown]
	v_mul_f32_e32 v105, 0x3ee437d1, v76
	v_fmac_f32_e32 v43, 0x3f06c442, v59
	v_mov_b32_e32 v44, v105
	v_add_f32_e32 v43, v1, v43
	v_fmac_f32_e32 v44, 0xbf65296c, v60
	v_mul_f32_e32 v106, 0x3dbcf732, v78
	v_add_f32_e32 v43, v44, v43
	v_mov_b32_e32 v44, v106
	v_fmac_f32_e32 v44, 0x3f7ee86f, v62
	v_mul_f32_e32 v107, 0xbf1a4643, v80
	v_add_f32_e32 v43, v44, v43
	v_mov_b32_e32 v44, v107
	;; [unrolled: 4-line block ×6, first 2 shown]
	v_mul_f32_e32 v112, 0x3f65296c, v73
	v_fmac_f32_e32 v44, 0xbf59a7d5, v56
	v_mov_b32_e32 v113, v112
	v_add_f32_e32 v44, v0, v44
	v_fmac_f32_e32 v113, 0x3ee437d1, v57
	v_add_f32_e32 v44, v113, v44
	v_mul_f32_e32 v113, 0xbf7ee86f, v75
	v_mov_b32_e32 v114, v113
	v_fmac_f32_e32 v114, 0x3dbcf732, v58
	v_add_f32_e32 v44, v114, v44
	v_mul_f32_e32 v114, 0x3f4c4adb, v77
	v_mov_b32_e32 v115, v114
	;; [unrolled: 4-line block ×6, first 2 shown]
	v_fmac_f32_e32 v44, 0x3f763a35, v71
	v_mul_f32_e32 v119, 0xbf763a35, v86
	v_add_f32_e32 v44, v44, v43
	v_mov_b32_e32 v43, v119
	v_fmac_f32_e32 v43, 0xbe8c1d8e, v69
	v_add_f32_e32 v43, v43, v134
	v_mul_f32_e32 v134, 0xbf4c4adb, v59
	v_sub_f32_e32 v122, v122, v134
	v_mul_f32_e32 v134, 0x3f763a35, v60
	v_sub_f32_e32 v123, v123, v134
	v_add_f32_e32 v122, v1, v122
	v_add_f32_e32 v122, v123, v122
	v_mul_f32_e32 v123, 0xbeb8f4ab, v62
	v_sub_f32_e32 v123, v125, v123
	v_mul_f32_e32 v125, 0xbf1a4643, v56
	v_add_f32_e32 v45, v125, v45
	v_mul_f32_e32 v125, 0xbe8c1d8e, v57
	v_add_f32_e32 v46, v125, v46
	v_add_f32_e32 v45, v0, v45
	v_add_f32_e32 v45, v46, v45
	v_mul_f32_e32 v46, 0x3f6eb680, v58
	v_add_f32_e32 v46, v46, v120
	v_add_f32_e32 v122, v123, v122
	v_mul_f32_e32 v123, 0xbf06c442, v64
	v_add_f32_e32 v45, v46, v45
	v_mul_f32_e32 v46, 0xbf59a7d5, v61
	v_sub_f32_e32 v123, v127, v123
	v_add_f32_e32 v46, v46, v121
	v_add_f32_e32 v122, v123, v122
	v_mul_f32_e32 v123, 0x3f7ee86f, v66
	v_add_f32_e32 v45, v46, v45
	v_mul_f32_e32 v46, 0x3dbcf732, v63
	v_sub_f32_e32 v123, v129, v123
	v_add_f32_e32 v46, v46, v124
	v_mul_f32_e32 v120, 0x3f3d2fb0, v65
	v_add_f32_e32 v122, v123, v122
	v_mul_f32_e32 v123, 0xbf2c7751, v68
	;; [unrolled: 2-line block ×3, first 2 shown]
	v_add_f32_e32 v120, v120, v126
	v_sub_f32_e32 v123, v130, v123
	v_mul_f32_e32 v124, 0x3ee437d1, v69
	v_add_f32_e32 v45, v120, v45
	v_add_f32_e32 v120, v121, v128
	;; [unrolled: 1-line block ×3, first 2 shown]
	v_mul_f32_e32 v123, 0xbe3c28d5, v70
	v_add_f32_e32 v45, v120, v45
	v_add_f32_e32 v120, v124, v131
	;; [unrolled: 1-line block ×4, first 2 shown]
	v_sub_f32_e32 v123, v132, v123
	v_add_f32_e32 v45, v120, v45
	v_mul_f32_e32 v120, 0xbe8c1d8e, v74
	v_add_f32_e32 v17, v17, v19
	v_add_f32_e32 v16, v16, v18
	;; [unrolled: 1-line block ×3, first 2 shown]
	v_mul_f32_e32 v123, 0x3f65296c, v71
	v_mov_b32_e32 v121, v120
	v_add_f32_e32 v17, v17, v25
	v_add_f32_e32 v16, v16, v24
	v_mul_f32_e32 v24, 0xbf763a35, v72
	v_sub_f32_e32 v123, v133, v123
	v_fmac_f32_e32 v121, 0x3f763a35, v59
	v_add_f32_e32 v17, v17, v27
	v_add_f32_e32 v16, v16, v26
	v_mov_b32_e32 v25, v24
	v_mul_f32_e32 v26, 0x3f06c442, v73
	v_add_f32_e32 v46, v123, v122
	v_add_f32_e32 v122, v1, v121
	v_mul_f32_e32 v121, 0xbf59a7d5, v76
	v_fmac_f32_e32 v25, 0xbe8c1d8e, v56
	v_mov_b32_e32 v27, v26
	v_add_f32_e32 v17, v17, v29
	v_add_f32_e32 v16, v16, v28
	v_mul_f32_e32 v28, 0x3f2c7751, v75
	v_mov_b32_e32 v123, v121
	v_add_f32_e32 v25, v0, v25
	v_fmac_f32_e32 v27, 0xbf59a7d5, v57
	v_add_f32_e32 v29, v17, v31
	v_mov_b32_e32 v17, v28
	v_fmac_f32_e32 v123, 0xbf06c442, v60
	v_add_f32_e32 v25, v27, v25
	v_fmac_f32_e32 v17, 0x3f3d2fb0, v58
	v_add_f32_e32 v123, v123, v122
	v_mul_f32_e32 v122, 0x3f3d2fb0, v78
	v_add_f32_e32 v17, v17, v25
	v_mul_f32_e32 v25, 0xbf65296c, v77
	v_mov_b32_e32 v124, v122
	v_mul_f32_e32 v18, 0x3ee437d1, v80
	v_add_f32_e32 v16, v16, v30
	v_mov_b32_e32 v30, v25
	v_fmac_f32_e32 v124, 0xbf2c7751, v62
	v_mov_b32_e32 v19, v18
	v_fmac_f32_e32 v30, 0x3ee437d1, v61
	v_add_f32_e32 v123, v124, v123
	v_fmac_f32_e32 v19, 0x3f65296c, v64
	v_add_f32_e32 v17, v30, v17
	v_mul_f32_e32 v30, 0xbe3c28d5, v79
	v_add_f32_e32 v123, v19, v123
	v_mul_f32_e32 v19, 0xbf7ba420, v82
	v_mov_b32_e32 v31, v30
	v_add_f32_e32 v29, v29, v33
	v_add_f32_e32 v16, v16, v32
	v_mul_f32_e32 v33, 0x3f7ee86f, v81
	v_mov_b32_e32 v124, v19
	v_fmac_f32_e32 v31, 0xbf7ba420, v63
	v_add_f32_e32 v32, v16, v34
	v_mov_b32_e32 v16, v33
	v_fmac_f32_e32 v124, 0x3e3c28d5, v66
	v_add_f32_e32 v31, v31, v17
	v_fmac_f32_e32 v16, 0x3dbcf732, v65
	v_add_f32_e32 v124, v124, v123
	v_mul_f32_e32 v123, 0x3dbcf732, v84
	v_add_f32_e32 v16, v16, v31
	v_mul_f32_e32 v31, 0xbeb8f4ab, v83
	v_mov_b32_e32 v125, v123
	v_mov_b32_e32 v34, v31
	v_fmac_f32_e32 v125, 0xbf7ee86f, v68
	v_fmac_f32_e32 v34, 0x3f6eb680, v67
	v_add_f32_e32 v125, v125, v124
	v_mul_f32_e32 v124, 0x3f6eb680, v87
	v_add_f32_e32 v16, v34, v16
	v_mul_f32_e32 v34, 0xbf4c4adb, v86
	v_mov_b32_e32 v126, v124
	v_mul_f32_e32 v27, 0xbf1a4643, v85
	v_add_f32_e32 v29, v29, v35
	v_mov_b32_e32 v35, v34
	v_fmac_f32_e32 v126, 0x3eb8f4ab, v70
	v_mov_b32_e32 v17, v27
	v_fmac_f32_e32 v35, 0xbf1a4643, v69
	v_add_f32_e32 v125, v126, v125
	v_fmac_f32_e32 v17, 0x3f4c4adb, v71
	v_add_f32_e32 v16, v35, v16
	v_mul_f32_e32 v35, 0x3dbcf732, v74
	v_add_f32_e32 v20, v32, v20
	v_add_f32_e32 v17, v17, v125
	v_mov_b32_e32 v125, v35
	v_add_f32_e32 v21, v29, v21
	v_add_f32_e32 v20, v20, v22
	v_mul_f32_e32 v22, 0xbf7ba420, v76
	v_fmac_f32_e32 v125, 0x3f7ee86f, v59
	v_add_f32_e32 v21, v21, v23
	v_mov_b32_e32 v23, v22
	v_mul_f32_e32 v29, 0xbe8c1d8e, v78
	v_add_f32_e32 v125, v1, v125
	v_fmac_f32_e32 v23, 0x3e3c28d5, v60
	v_mov_b32_e32 v32, v29
	v_add_f32_e32 v23, v23, v125
	v_fmac_f32_e32 v32, 0xbf763a35, v62
	v_add_f32_e32 v23, v32, v23
	v_mul_f32_e32 v32, 0x3f6eb680, v80
	v_mov_b32_e32 v125, v32
	v_fmac_f32_e32 v125, 0xbeb8f4ab, v64
	v_add_f32_e32 v23, v125, v23
	v_mul_f32_e32 v125, 0x3ee437d1, v82
	v_mov_b32_e32 v126, v125
	v_fmac_f32_e32 v126, 0x3f65296c, v66
	v_add_f32_e32 v23, v126, v23
	v_add_f32_e32 v12, v20, v12
	v_mul_f32_e32 v126, 0xbf59a7d5, v84
	v_add_f32_e32 v12, v12, v14
	v_mov_b32_e32 v14, v126
	v_fmac_f32_e32 v14, 0x3f06c442, v68
	v_add_f32_e32 v13, v21, v13
	v_add_f32_e32 v14, v14, v23
	v_mul_f32_e32 v23, 0xbf1a4643, v87
	v_add_f32_e32 v13, v13, v15
	v_mov_b32_e32 v15, v23
	v_fmac_f32_e32 v15, 0xbf4c4adb, v70
	v_mul_f32_e32 v127, 0xbf7ee86f, v72
	v_add_f32_e32 v14, v15, v14
	v_mov_b32_e32 v15, v127
	v_add_f32_e32 v8, v12, v8
	v_mul_f32_e32 v128, 0xbe3c28d5, v73
	v_fmac_f32_e32 v15, 0x3dbcf732, v56
	v_add_f32_e32 v9, v13, v9
	v_add_f32_e32 v8, v8, v10
	v_mov_b32_e32 v10, v128
	v_mul_f32_e32 v129, 0x3f763a35, v75
	v_add_f32_e32 v15, v0, v15
	v_add_f32_e32 v9, v9, v11
	v_fmac_f32_e32 v10, 0xbf7ba420, v57
	v_mov_b32_e32 v11, v129
	v_add_f32_e32 v4, v8, v4
	v_mul_f32_e32 v131, 0x3eb8f4ab, v77
	v_add_f32_e32 v10, v10, v15
	v_fmac_f32_e32 v11, 0xbe8c1d8e, v58
	v_add_f32_e32 v5, v9, v5
	v_add_f32_e32 v4, v4, v6
	v_mov_b32_e32 v6, v131
	v_mul_f32_e32 v132, 0xbf65296c, v79
	v_add_f32_e32 v10, v11, v10
	v_add_f32_e32 v5, v5, v7
	v_fmac_f32_e32 v6, 0x3f6eb680, v61
	v_mov_b32_e32 v7, v132
	v_add_f32_e32 v6, v6, v10
	v_fmac_f32_e32 v7, 0x3ee437d1, v63
	v_mul_f32_e32 v133, 0xbf06c442, v81
	v_add_f32_e32 v6, v7, v6
	v_mov_b32_e32 v7, v133
	v_fmac_f32_e32 v7, 0xbf59a7d5, v65
	v_mul_f32_e32 v134, 0x3f4c4adb, v83
	v_add_f32_e32 v6, v7, v6
	v_mov_b32_e32 v7, v134
	v_mul_f32_e32 v135, 0x3f2c7751, v86
	v_fmac_f32_e32 v7, 0xbf1a4643, v67
	v_mov_b32_e32 v8, v135
	v_add_f32_e32 v6, v7, v6
	v_fmac_f32_e32 v8, 0x3f3d2fb0, v69
	v_mul_f32_e32 v136, 0x3ee437d1, v74
	v_add_f32_e32 v6, v8, v6
	v_mov_b32_e32 v8, v136
	v_mul_f32_e32 v137, 0xbf1a4643, v76
	v_fmac_f32_e32 v8, 0x3f65296c, v59
	v_mov_b32_e32 v9, v137
	v_add_f32_e32 v8, v1, v8
	v_fmac_f32_e32 v9, 0x3f4c4adb, v60
	v_mul_f32_e32 v138, 0xbf7ba420, v78
	v_add_f32_e32 v8, v9, v8
	v_mov_b32_e32 v9, v138
	v_fmac_f32_e32 v9, 0xbe3c28d5, v62
	v_mul_f32_e32 v139, 0xbe8c1d8e, v80
	v_add_f32_e32 v8, v9, v8
	v_mov_b32_e32 v9, v139
	v_fmac_f32_e32 v9, 0xbf763a35, v64
	v_mul_f32_e32 v140, 0x3f3d2fb0, v82
	v_add_f32_e32 v8, v9, v8
	v_mov_b32_e32 v9, v140
	v_fmac_f32_e32 v9, 0xbf2c7751, v66
	v_mul_f32_e32 v141, 0x3f6eb680, v84
	v_add_f32_e32 v8, v9, v8
	v_mov_b32_e32 v9, v141
	v_fmac_f32_e32 v9, 0x3eb8f4ab, v68
	v_mul_f32_e32 v142, 0x3dbcf732, v87
	v_add_f32_e32 v8, v9, v8
	v_mov_b32_e32 v9, v142
	v_fmac_f32_e32 v9, 0x3f7ee86f, v70
	v_mul_f32_e32 v143, 0xbf65296c, v72
	v_add_f32_e32 v8, v9, v8
	v_mov_b32_e32 v9, v143
	v_mul_f32_e32 v144, 0xbf4c4adb, v73
	v_fmac_f32_e32 v9, 0x3ee437d1, v56
	v_mov_b32_e32 v10, v144
	v_add_f32_e32 v9, v0, v9
	v_fmac_f32_e32 v10, 0xbf1a4643, v57
	v_mul_f32_e32 v145, 0x3e3c28d5, v75
	v_add_f32_e32 v9, v10, v9
	v_mov_b32_e32 v10, v145
	v_fmac_f32_e32 v10, 0xbf7ba420, v58
	v_mul_f32_e32 v146, 0x3f763a35, v77
	v_add_f32_e32 v9, v10, v9
	v_mov_b32_e32 v10, v146
	;; [unrolled: 4-line block ×8, first 2 shown]
	v_mul_f32_e32 v153, 0x3dbcf732, v76
	v_fmac_f32_e32 v10, 0x3f2c7751, v59
	v_mov_b32_e32 v11, v153
	v_add_f32_e32 v10, v1, v10
	v_fmac_f32_e32 v11, 0x3f7ee86f, v60
	v_mul_f32_e32 v154, 0xbf1a4643, v78
	v_add_f32_e32 v10, v11, v10
	v_mov_b32_e32 v11, v154
	v_fmac_f32_e32 v11, 0x3f4c4adb, v62
	v_mul_f32_e32 v155, 0xbf7ba420, v80
	v_add_f32_e32 v10, v11, v10
	v_mov_b32_e32 v11, v155
	;; [unrolled: 4-line block ×6, first 2 shown]
	v_mul_f32_e32 v160, 0xbf7ee86f, v73
	v_fmac_f32_e32 v11, 0x3f3d2fb0, v56
	v_mov_b32_e32 v12, v160
	v_add_f32_e32 v11, v0, v11
	v_fmac_f32_e32 v12, 0x3dbcf732, v57
	v_mul_f32_e32 v161, 0xbf4c4adb, v75
	v_add_f32_e32 v11, v12, v11
	v_mov_b32_e32 v12, v161
	v_fmac_f32_e32 v12, 0xbf1a4643, v58
	v_mul_f32_e32 v162, 0xbe3c28d5, v77
	v_add_f32_e32 v11, v12, v11
	v_mov_b32_e32 v12, v162
	;; [unrolled: 4-line block ×8, first 2 shown]
	v_mul_f32_e32 v76, 0x3f3d2fb0, v76
	v_fmac_f32_e32 v12, 0x3eb8f4ab, v59
	v_mov_b32_e32 v13, v76
	v_add_f32_e32 v12, v1, v12
	v_fmac_f32_e32 v13, 0x3f2c7751, v60
	v_mul_f32_e32 v78, 0x3ee437d1, v78
	v_add_f32_e32 v12, v13, v12
	v_mov_b32_e32 v13, v78
	v_fmac_f32_e32 v13, 0x3f65296c, v62
	v_mul_f32_e32 v80, 0x3dbcf732, v80
	v_add_f32_e32 v12, v13, v12
	v_mov_b32_e32 v13, v80
	;; [unrolled: 4-line block ×4, first 2 shown]
	v_fmac_f32_e32 v13, 0x3f4c4adb, v68
	v_mul_f32_e32 v87, 0xbf59a7d5, v87
	v_mul_f32_e32 v130, 0x3f3d2fb0, v85
	v_add_f32_e32 v12, v13, v12
	v_mov_b32_e32 v13, v87
	v_mov_b32_e32 v7, v130
	v_fmac_f32_e32 v13, 0x3f06c442, v70
	v_mul_f32_e32 v72, 0xbeb8f4ab, v72
	v_fmac_f32_e32 v7, 0xbf2c7751, v71
	v_add_f32_e32 v12, v13, v12
	v_mov_b32_e32 v13, v72
	v_mul_f32_e32 v73, 0xbf2c7751, v73
	v_add_f32_e32 v7, v7, v14
	v_fmac_f32_e32 v13, 0x3f6eb680, v56
	v_mov_b32_e32 v14, v73
	v_add_f32_e32 v13, v0, v13
	v_fmac_f32_e32 v14, 0x3f3d2fb0, v57
	v_mul_f32_e32 v75, 0xbf65296c, v75
	v_add_f32_e32 v13, v14, v13
	v_mov_b32_e32 v14, v75
	v_fmac_f32_e32 v14, 0x3ee437d1, v58
	v_mul_f32_e32 v77, 0xbf7ee86f, v77
	v_add_f32_e32 v13, v14, v13
	v_mov_b32_e32 v14, v77
	v_fmac_f32_e32 v14, 0x3dbcf732, v61
	v_mul_f32_e32 v79, 0xbf763a35, v79
	v_add_f32_e32 v13, v14, v13
	v_mov_b32_e32 v14, v79
	v_fmac_f32_e32 v14, 0xbe8c1d8e, v63
	v_mul_f32_e32 v81, 0xbf4c4adb, v81
	v_add_f32_e32 v13, v14, v13
	v_mov_b32_e32 v14, v81
	v_fmac_f32_e32 v14, 0xbf1a4643, v65
	v_mul_f32_e32 v83, 0xbf06c442, v83
	v_add_f32_e32 v13, v14, v13
	v_mov_b32_e32 v14, v83
	v_fmac_f32_e32 v14, 0xbf59a7d5, v67
	v_mul_f32_e32 v85, 0xbf7ba420, v85
	v_add_f32_e32 v14, v14, v13
	v_mov_b32_e32 v13, v85
	v_fmac_f32_e32 v13, 0x3e3c28d5, v71
	v_mul_f32_e32 v86, 0xbe3c28d5, v86
	v_add_f32_e32 v13, v13, v12
	v_mov_b32_e32 v12, v86
	v_fmac_f32_e32 v12, 0xbf7ba420, v69
	v_fmac_f32_e32 v89, 0xbe3c28d5, v59
	v_add_f32_e32 v12, v12, v14
	v_add_f32_e32 v14, v1, v89
	v_fmac_f32_e32 v90, 0x3eb8f4ab, v60
	v_fma_f32 v15, v56, s16, -v96
	v_add_f32_e32 v14, v90, v14
	v_fmac_f32_e32 v91, 0xbf06c442, v62
	v_add_f32_e32 v15, v0, v15
	v_fma_f32 v20, v57, s8, -v97
	v_add_f32_e32 v14, v91, v14
	v_fmac_f32_e32 v92, 0x3f2c7751, v64
	v_add_f32_e32 v15, v20, v15
	;; [unrolled: 4-line block ×5, first 2 shown]
	v_fma_f32 v20, v65, s17, -v101
	v_add_f32_e32 v14, v95, v14
	v_add_f32_e32 v15, v20, v15
	v_fma_f32 v20, v67, s7, -v102
	v_fmac_f32_e32 v88, 0x3f7ee86f, v71
	v_add_f32_e32 v20, v20, v15
	v_add_f32_e32 v15, v88, v14
	v_fma_f32 v14, v69, s14, -v103
	v_fmac_f32_e32 v104, 0xbf06c442, v59
	v_add_f32_e32 v14, v14, v20
	v_add_f32_e32 v20, v1, v104
	v_fmac_f32_e32 v105, 0x3f65296c, v60
	v_fma_f32 v21, v56, s9, -v111
	v_add_f32_e32 v20, v105, v20
	v_fmac_f32_e32 v106, 0xbf7ee86f, v62
	v_add_f32_e32 v21, v0, v21
	v_fma_f32 v88, v57, s17, -v112
	v_add_f32_e32 v20, v106, v20
	v_fmac_f32_e32 v107, 0x3f4c4adb, v64
	v_add_f32_e32 v21, v88, v21
	;; [unrolled: 4-line block ×5, first 2 shown]
	v_fma_f32 v88, v65, s16, -v116
	v_add_f32_e32 v20, v110, v20
	v_add_f32_e32 v21, v88, v21
	v_fma_f32 v88, v67, s15, -v117
	v_fmac_f32_e32 v118, 0xbf763a35, v71
	v_add_f32_e32 v88, v88, v21
	v_add_f32_e32 v21, v118, v20
	v_fma_f32 v20, v69, s7, -v119
	v_fmac_f32_e32 v120, 0xbf763a35, v59
	v_add_f32_e32 v20, v20, v88
	v_add_f32_e32 v88, v1, v120
	v_fmac_f32_e32 v121, 0x3f06c442, v60
	v_add_f32_e32 v88, v121, v88
	v_fmac_f32_e32 v122, 0x3f2c7751, v62
	;; [unrolled: 2-line block ×4, first 2 shown]
	v_add_f32_e32 v18, v19, v18
	v_fma_f32 v19, v56, s7, -v24
	v_add_f32_e32 v19, v0, v19
	v_fma_f32 v24, v57, s9, -v26
	v_fmac_f32_e32 v123, 0x3f7ee86f, v68
	v_add_f32_e32 v19, v24, v19
	v_fma_f32 v24, v58, s15, -v28
	v_add_f32_e32 v18, v123, v18
	v_fmac_f32_e32 v124, 0xbeb8f4ab, v70
	v_add_f32_e32 v19, v24, v19
	v_fma_f32 v24, v61, s17, -v25
	v_add_f32_e32 v18, v124, v18
	v_add_f32_e32 v19, v24, v19
	v_fma_f32 v24, v63, s16, -v30
	v_fmac_f32_e32 v27, 0xbf4c4adb, v71
	v_add_f32_e32 v24, v24, v19
	v_add_f32_e32 v19, v27, v18
	v_fma_f32 v18, v65, s14, -v33
	v_add_f32_e32 v18, v18, v24
	v_fma_f32 v24, v67, s8, -v31
	v_add_f32_e32 v18, v24, v18
	v_fma_f32 v24, v69, s6, -v34
	v_fmac_f32_e32 v35, 0xbf7ee86f, v59
	v_add_f32_e32 v18, v24, v18
	v_add_f32_e32 v24, v1, v35
	v_fmac_f32_e32 v22, 0xbe3c28d5, v60
	v_add_f32_e32 v22, v22, v24
	v_fmac_f32_e32 v29, 0x3f763a35, v62
	v_add_f32_e32 v22, v29, v22
	v_fmac_f32_e32 v32, 0x3eb8f4ab, v64
	v_add_f32_e32 v22, v32, v22
	v_fmac_f32_e32 v125, 0xbf65296c, v66
	v_add_f32_e32 v22, v125, v22
	v_fmac_f32_e32 v126, 0xbf06c442, v68
	v_add_f32_e32 v22, v126, v22
	v_fmac_f32_e32 v23, 0x3f4c4adb, v70
	v_add_f32_e32 v22, v23, v22
	v_fmac_f32_e32 v130, 0x3f2c7751, v71
	v_add_f32_e32 v23, v130, v22
	v_fma_f32 v22, v56, s14, -v127
	v_add_f32_e32 v22, v0, v22
	v_fma_f32 v24, v57, s16, -v128
	v_add_f32_e32 v22, v24, v22
	v_fma_f32 v24, v58, s7, -v129
	v_add_f32_e32 v22, v24, v22
	v_fma_f32 v24, v61, s8, -v131
	v_add_f32_e32 v22, v24, v22
	v_fma_f32 v24, v63, s17, -v132
	v_add_f32_e32 v22, v24, v22
	v_fma_f32 v24, v65, s9, -v133
	v_add_f32_e32 v22, v24, v22
	v_fma_f32 v24, v67, s6, -v134
	v_add_f32_e32 v22, v24, v22
	v_fma_f32 v24, v69, s15, -v135
	v_fmac_f32_e32 v136, 0xbf65296c, v59
	v_add_f32_e32 v22, v24, v22
	v_add_f32_e32 v24, v1, v136
	v_fmac_f32_e32 v137, 0xbf4c4adb, v60
	v_add_f32_e32 v24, v137, v24
	v_fmac_f32_e32 v138, 0x3e3c28d5, v62
	v_add_f32_e32 v24, v138, v24
	v_fmac_f32_e32 v139, 0x3f763a35, v64
	v_add_f32_e32 v24, v139, v24
	v_fmac_f32_e32 v140, 0x3f2c7751, v66
	v_add_f32_e32 v24, v140, v24
	v_fmac_f32_e32 v141, 0xbeb8f4ab, v68
	v_add_f32_e32 v24, v141, v24
	v_fmac_f32_e32 v142, 0xbf7ee86f, v70
	v_add_f32_e32 v24, v142, v24
	v_fmac_f32_e32 v150, 0xbf06c442, v71
	v_add_f32_e32 v25, v150, v24
	v_fma_f32 v24, v56, s17, -v143
	v_add_f32_e32 v24, v0, v24
	v_fma_f32 v26, v57, s6, -v144
	v_add_f32_e32 v24, v26, v24
	v_fma_f32 v26, v58, s16, -v145
	v_add_f32_e32 v24, v26, v24
	v_fma_f32 v26, v61, s7, -v146
	v_add_f32_e32 v24, v26, v24
	v_fma_f32 v26, v63, s15, -v147
	;; [unrolled: 32-line block ×3, first 2 shown]
	v_add_f32_e32 v26, v28, v26
	v_fma_f32 v28, v65, s7, -v164
	v_add_f32_e32 v26, v28, v26
	v_fma_f32 v28, v67, s17, -v165
	;; [unrolled: 2-line block ×5, first 2 shown]
	v_fmac_f32_e32 v74, 0xbeb8f4ab, v59
	v_add_f32_e32 v0, v28, v0
	v_fma_f32 v28, v58, s17, -v75
	v_add_f32_e32 v1, v1, v74
	v_fmac_f32_e32 v76, 0xbf2c7751, v60
	v_add_f32_e32 v0, v28, v0
	v_fma_f32 v28, v61, s14, -v77
	v_add_f32_e32 v1, v76, v1
	;; [unrolled: 4-line block ×6, first 2 shown]
	v_fmac_f32_e32 v87, 0xbf06c442, v70
	v_add_f32_e32 v0, v28, v0
	v_mul_u32_u24_e32 v28, 0x88, v40
	v_add_f32_e32 v1, v87, v1
	v_fmac_f32_e32 v85, 0xbe3c28d5, v71
	v_add3_u32 v28, 0, v28, v49
	v_add_f32_e32 v1, v85, v1
	ds_write2_b64 v28, v[4:5], v[12:13] offset1:1
	ds_write2_b64 v28, v[10:11], v[8:9] offset0:2 offset1:3
	ds_write2_b64 v28, v[6:7], v[16:17] offset0:4 offset1:5
	;; [unrolled: 1-line block ×7, first 2 shown]
	ds_write_b64 v28, v[0:1] offset:128
.LBB0_23:
	s_or_b64 exec, exec, s[4:5]
	s_movk_i32 s4, 0xf1
	v_mul_lo_u16_sdwa v0, v40, s4 dst_sel:DWORD dst_unused:UNUSED_PAD src0_sel:BYTE_0 src1_sel:DWORD
	v_lshrrev_b16_e32 v12, 12, v0
	v_mul_lo_u16_e32 v0, 17, v12
	v_sub_u16_e32 v13, v40, v0
	v_mov_b32_e32 v0, 10
	v_mul_u32_u24_sdwa v0, v13, v0 dst_sel:DWORD dst_unused:UNUSED_PAD src0_sel:BYTE_0 src1_sel:DWORD
	v_lshlrev_b32_e32 v0, 3, v0
	s_waitcnt lgkmcnt(0)
	s_barrier
	global_load_dwordx4 v[4:7], v0, s[12:13]
	global_load_dwordx4 v[8:11], v0, s[12:13] offset:16
	global_load_dwordx4 v[14:17], v0, s[12:13] offset:32
	;; [unrolled: 1-line block ×4, first 2 shown]
	ds_read2_b64 v[26:29], v48 offset0:102 offset1:204
	ds_read2_b64 v[30:33], v54 offset0:50 offset1:152
	ds_read2_b32 v[0:1], v55 offset0:252 offset1:253
	ds_read2_b64 v[41:44], v52 offset0:100 offset1:202
	ds_read2_b64 v[53:56], v53 offset0:48 offset1:150
	ds_read_b64 v[34:35], v50
	ds_read_b64 v[45:46], v48 offset:8160
	s_mov_b32 s4, 0x3f575c64
	s_mov_b32 s5, 0x3ed4b147
	;; [unrolled: 1-line block ×5, first 2 shown]
	s_waitcnt vmcnt(0) lgkmcnt(0)
	s_barrier
	v_mul_f32_e32 v57, v5, v27
	v_mul_f32_e32 v5, v5, v26
	;; [unrolled: 1-line block ×6, first 2 shown]
	v_fmac_f32_e32 v57, v4, v26
	v_fma_f32 v4, v4, v27, -v5
	v_mul_f32_e32 v59, v9, v31
	v_mul_f32_e32 v9, v9, v30
	v_fma_f32 v5, v6, v29, -v7
	v_fmac_f32_e32 v61, v14, v0
	v_fma_f32 v0, v1, v14, -v15
	v_add_f32_e32 v15, v4, v35
	v_mul_f32_e32 v60, v11, v33
	v_mul_f32_e32 v11, v11, v32
	v_fmac_f32_e32 v58, v6, v28
	v_fma_f32 v6, v8, v31, -v9
	v_add_f32_e32 v15, v15, v5
	v_fma_f32 v7, v10, v33, -v11
	v_add_f32_e32 v15, v15, v6
	v_mul_f32_e32 v62, v42, v17
	v_mul_f32_e32 v17, v41, v17
	v_add_f32_e32 v15, v15, v7
	v_mul_f32_e32 v63, v44, v19
	v_mul_f32_e32 v19, v43, v19
	v_mul_f32_e32 v66, v46, v25
	v_mul_f32_e32 v25, v45, v25
	v_fma_f32 v1, v42, v16, -v17
	v_add_f32_e32 v15, v15, v0
	v_mul_f32_e32 v64, v54, v21
	v_mul_f32_e32 v21, v53, v21
	v_fmac_f32_e32 v59, v8, v30
	v_fma_f32 v8, v44, v18, -v19
	v_fma_f32 v11, v46, v24, -v25
	v_add_f32_e32 v15, v15, v1
	v_mul_f32_e32 v65, v56, v23
	v_mul_f32_e32 v23, v55, v23
	v_fma_f32 v9, v54, v20, -v21
	v_fmac_f32_e32 v66, v45, v24
	v_add_f32_e32 v17, v4, v11
	v_add_f32_e32 v15, v15, v8
	v_fmac_f32_e32 v60, v10, v32
	v_fmac_f32_e32 v63, v43, v18
	;; [unrolled: 1-line block ×3, first 2 shown]
	v_fma_f32 v10, v56, v22, -v23
	v_sub_f32_e32 v18, v57, v66
	v_mul_f32_e32 v20, 0x3f575c64, v17
	v_add_f32_e32 v15, v15, v9
	v_mul_f32_e32 v24, 0x3ed4b147, v17
	v_mul_f32_e32 v28, 0xbe11bafb, v17
	;; [unrolled: 1-line block ×4, first 2 shown]
	v_fmac_f32_e32 v65, v55, v22
	v_sub_f32_e32 v4, v4, v11
	v_mov_b32_e32 v22, v20
	v_fmac_f32_e32 v20, 0xbf0a6770, v18
	v_add_f32_e32 v15, v15, v10
	v_mov_b32_e32 v25, v24
	v_mov_b32_e32 v29, v28
	;; [unrolled: 1-line block ×4, first 2 shown]
	v_mul_f32_e32 v19, 0xbf0a6770, v4
	v_fmac_f32_e32 v22, 0x3f0a6770, v18
	v_add_f32_e32 v15, v15, v11
	v_add_f32_e32 v11, v20, v35
	v_mul_f32_e32 v20, 0xbf68dda4, v4
	v_fmac_f32_e32 v25, 0x3f68dda4, v18
	v_fmac_f32_e32 v24, 0xbf68dda4, v18
	v_mul_f32_e32 v26, 0xbf7d64f0, v4
	v_fmac_f32_e32 v29, 0x3f7d64f0, v18
	v_fmac_f32_e32 v28, 0xbf7d64f0, v18
	;; [unrolled: 3-line block ×4, first 2 shown]
	v_add_f32_e32 v18, v5, v10
	v_sub_f32_e32 v5, v5, v10
	v_fmac_f32_e32 v62, v41, v16
	v_add_f32_e32 v16, v57, v66
	v_mov_b32_e32 v21, v19
	v_mov_b32_e32 v23, v20
	;; [unrolled: 1-line block ×5, first 2 shown]
	v_mul_f32_e32 v10, 0xbf68dda4, v5
	v_fma_f32 v19, v16, s4, -v19
	v_fmac_f32_e32 v21, 0x3f575c64, v16
	v_add_f32_e32 v22, v22, v35
	v_fmac_f32_e32 v23, 0x3ed4b147, v16
	v_add_f32_e32 v25, v25, v35
	v_fma_f32 v20, v16, s5, -v20
	v_add_f32_e32 v24, v24, v35
	v_fmac_f32_e32 v27, 0xbe11bafb, v16
	v_add_f32_e32 v29, v29, v35
	v_fma_f32 v26, v16, s6, -v26
	;; [unrolled: 4-line block ×4, first 2 shown]
	v_add_f32_e32 v16, v17, v35
	v_add_f32_e32 v17, v58, v65
	v_mov_b32_e32 v35, v10
	v_add_f32_e32 v21, v21, v34
	v_fmac_f32_e32 v35, 0x3ed4b147, v17
	v_add_f32_e32 v14, v57, v34
	v_add_f32_e32 v19, v19, v34
	;; [unrolled: 1-line block ×10, first 2 shown]
	v_sub_f32_e32 v34, v58, v65
	v_add_f32_e32 v21, v35, v21
	v_mul_f32_e32 v35, 0x3ed4b147, v18
	v_fma_f32 v10, v17, s5, -v10
	v_mov_b32_e32 v43, v35
	v_add_f32_e32 v10, v10, v19
	v_fmac_f32_e32 v35, 0xbf68dda4, v34
	v_mul_f32_e32 v19, 0xbf4178ce, v5
	v_add_f32_e32 v11, v35, v11
	v_mov_b32_e32 v35, v19
	v_fmac_f32_e32 v35, 0xbf27a4f4, v17
	v_fmac_f32_e32 v43, 0x3f68dda4, v34
	v_add_f32_e32 v23, v35, v23
	v_mul_f32_e32 v35, 0xbf27a4f4, v18
	v_add_f32_e32 v22, v43, v22
	v_mov_b32_e32 v43, v35
	v_fma_f32 v19, v17, s7, -v19
	v_fmac_f32_e32 v35, 0xbf4178ce, v34
	v_add_f32_e32 v19, v19, v20
	v_add_f32_e32 v20, v35, v24
	v_mul_f32_e32 v24, 0x3e903f40, v5
	v_mov_b32_e32 v35, v24
	v_fmac_f32_e32 v35, 0xbf75a155, v17
	v_fmac_f32_e32 v43, 0x3f4178ce, v34
	v_add_f32_e32 v27, v35, v27
	v_mul_f32_e32 v35, 0xbf75a155, v18
	v_add_f32_e32 v25, v43, v25
	v_mov_b32_e32 v43, v35
	v_fma_f32 v24, v17, s8, -v24
	v_fmac_f32_e32 v35, 0x3e903f40, v34
	v_add_f32_e32 v24, v24, v26
	v_add_f32_e32 v26, v35, v28
	v_mul_f32_e32 v28, 0x3f7d64f0, v5
	v_mov_b32_e32 v35, v28
	v_fmac_f32_e32 v35, 0xbe11bafb, v17
	v_fmac_f32_e32 v43, 0xbe903f40, v34
	v_add_f32_e32 v31, v35, v31
	v_mul_f32_e32 v35, 0xbe11bafb, v18
	v_add_f32_e32 v29, v43, v29
	v_mov_b32_e32 v43, v35
	v_fma_f32 v28, v17, s6, -v28
	v_fmac_f32_e32 v35, 0x3f7d64f0, v34
	v_mul_f32_e32 v5, 0x3f0a6770, v5
	v_add_f32_e32 v28, v28, v30
	v_add_f32_e32 v30, v35, v32
	v_mov_b32_e32 v32, v5
	v_fmac_f32_e32 v32, 0x3f575c64, v17
	v_mul_f32_e32 v18, 0x3f575c64, v18
	v_fma_f32 v5, v17, s4, -v5
	v_add_f32_e32 v17, v6, v9
	v_sub_f32_e32 v6, v6, v9
	v_mov_b32_e32 v35, v18
	v_fmac_f32_e32 v18, 0x3f0a6770, v34
	v_mul_f32_e32 v9, 0xbf7d64f0, v6
	v_fmac_f32_e32 v43, 0xbf7d64f0, v34
	v_fmac_f32_e32 v35, 0xbf0a6770, v34
	v_add_f32_e32 v4, v5, v4
	v_add_f32_e32 v5, v18, v16
	;; [unrolled: 1-line block ×3, first 2 shown]
	v_mov_b32_e32 v34, v9
	v_fmac_f32_e32 v34, 0xbe11bafb, v16
	v_sub_f32_e32 v18, v59, v64
	v_add_f32_e32 v21, v34, v21
	v_mul_f32_e32 v34, 0xbe11bafb, v17
	v_add_f32_e32 v32, v32, v41
	v_mov_b32_e32 v41, v34
	v_fma_f32 v9, v16, s6, -v9
	v_fmac_f32_e32 v34, 0xbf7d64f0, v18
	v_add_f32_e32 v9, v9, v10
	v_add_f32_e32 v10, v34, v11
	v_mul_f32_e32 v11, 0x3e903f40, v6
	v_mov_b32_e32 v34, v11
	v_fmac_f32_e32 v34, 0xbf75a155, v16
	v_fmac_f32_e32 v41, 0x3f7d64f0, v18
	v_add_f32_e32 v23, v34, v23
	v_mul_f32_e32 v34, 0xbf75a155, v17
	v_add_f32_e32 v22, v41, v22
	v_mov_b32_e32 v41, v34
	v_fma_f32 v11, v16, s8, -v11
	v_fmac_f32_e32 v34, 0x3e903f40, v18
	v_add_f32_e32 v11, v11, v19
	v_add_f32_e32 v19, v34, v20
	v_mul_f32_e32 v20, 0x3f68dda4, v6
	v_mov_b32_e32 v34, v20
	v_fmac_f32_e32 v34, 0x3ed4b147, v16
	v_fmac_f32_e32 v41, 0xbe903f40, v18
	;; [unrolled: 12-line block ×3, first 2 shown]
	v_add_f32_e32 v31, v34, v31
	v_mul_f32_e32 v34, 0x3f575c64, v17
	v_add_f32_e32 v29, v41, v29
	v_mov_b32_e32 v41, v34
	v_fma_f32 v26, v16, s4, -v26
	v_fmac_f32_e32 v34, 0xbf0a6770, v18
	v_mul_f32_e32 v6, 0xbf4178ce, v6
	v_add_f32_e32 v26, v26, v28
	v_add_f32_e32 v28, v34, v30
	v_mov_b32_e32 v30, v6
	v_fmac_f32_e32 v30, 0xbf27a4f4, v16
	v_mul_f32_e32 v17, 0xbf27a4f4, v17
	v_fma_f32 v6, v16, s7, -v6
	v_add_f32_e32 v16, v7, v8
	v_sub_f32_e32 v7, v7, v8
	v_add_f32_e32 v30, v30, v32
	v_mov_b32_e32 v32, v17
	v_mul_f32_e32 v8, 0xbf4178ce, v7
	v_fmac_f32_e32 v41, 0x3f0a6770, v18
	v_fmac_f32_e32 v32, 0x3f4178ce, v18
	v_add_f32_e32 v4, v6, v4
	v_fmac_f32_e32 v17, 0xbf4178ce, v18
	v_add_f32_e32 v6, v60, v63
	v_mov_b32_e32 v18, v8
	v_fmac_f32_e32 v18, 0xbf27a4f4, v6
	v_add_f32_e32 v5, v17, v5
	v_sub_f32_e32 v17, v60, v63
	v_add_f32_e32 v18, v18, v21
	v_mul_f32_e32 v21, 0xbf27a4f4, v16
	v_mov_b32_e32 v34, v21
	v_fma_f32 v8, v6, s7, -v8
	v_fmac_f32_e32 v21, 0xbf4178ce, v17
	v_add_f32_e32 v8, v8, v9
	v_add_f32_e32 v9, v21, v10
	v_mul_f32_e32 v10, 0x3f7d64f0, v7
	v_mov_b32_e32 v21, v10
	v_fmac_f32_e32 v21, 0xbe11bafb, v6
	v_fmac_f32_e32 v34, 0x3f4178ce, v17
	v_add_f32_e32 v21, v21, v23
	v_mul_f32_e32 v23, 0xbe11bafb, v16
	v_add_f32_e32 v22, v34, v22
	v_mov_b32_e32 v34, v23
	v_fma_f32 v10, v6, s6, -v10
	v_fmac_f32_e32 v23, 0x3f7d64f0, v17
	v_add_f32_e32 v10, v10, v11
	v_add_f32_e32 v11, v23, v19
	v_mul_f32_e32 v19, 0xbf0a6770, v7
	v_mov_b32_e32 v23, v19
	v_fmac_f32_e32 v23, 0x3f575c64, v6
	v_fmac_f32_e32 v34, 0xbf7d64f0, v17
	v_add_f32_e32 v23, v23, v27
	v_mul_f32_e32 v27, 0x3f575c64, v16
	v_add_f32_e32 v25, v34, v25
	v_mov_b32_e32 v34, v27
	v_fmac_f32_e32 v34, 0x3f0a6770, v17
	v_fma_f32 v19, v6, s4, -v19
	v_add_f32_e32 v29, v34, v29
	v_add_f32_e32 v34, v19, v20
	v_mul_f32_e32 v19, 0xbe903f40, v7
	v_mov_b32_e32 v20, v19
	v_fmac_f32_e32 v27, 0xbf0a6770, v17
	v_fmac_f32_e32 v20, 0xbf75a155, v6
	v_add_f32_e32 v24, v27, v24
	v_add_f32_e32 v27, v20, v31
	v_mul_f32_e32 v20, 0xbf75a155, v16
	v_add_f32_e32 v33, v43, v33
	v_add_f32_e32 v35, v35, v42
	v_mov_b32_e32 v31, v20
	v_fma_f32 v19, v6, s8, -v19
	v_mul_f32_e32 v7, 0x3f68dda4, v7
	v_sub_f32_e32 v42, v0, v1
	v_add_f32_e32 v33, v41, v33
	v_add_f32_e32 v32, v32, v35
	v_fmac_f32_e32 v31, 0x3e903f40, v17
	v_add_f32_e32 v26, v19, v26
	v_mov_b32_e32 v19, v7
	v_add_f32_e32 v35, v0, v1
	v_mul_f32_e32 v0, 0xbe903f40, v42
	v_add_f32_e32 v31, v31, v33
	v_fmac_f32_e32 v19, 0x3ed4b147, v6
	v_mul_f32_e32 v16, 0x3ed4b147, v16
	v_add_f32_e32 v33, v61, v62
	v_mov_b32_e32 v1, v0
	v_add_f32_e32 v30, v19, v30
	v_mov_b32_e32 v19, v16
	v_fmac_f32_e32 v16, 0x3f68dda4, v17
	v_fmac_f32_e32 v1, 0xbf75a155, v33
	v_fma_f32 v6, v6, s5, -v7
	v_add_f32_e32 v5, v16, v5
	v_add_f32_e32 v16, v1, v18
	v_mul_f32_e32 v1, 0xbf75a155, v35
	v_add_f32_e32 v4, v6, v4
	v_sub_f32_e32 v41, v61, v62
	v_mov_b32_e32 v6, v1
	v_fmac_f32_e32 v6, 0x3e903f40, v41
	v_fmac_f32_e32 v20, 0xbe903f40, v17
	;; [unrolled: 1-line block ×3, first 2 shown]
	v_add_f32_e32 v17, v6, v22
	v_mul_f32_e32 v6, 0x3f0a6770, v42
	v_mov_b32_e32 v7, v6
	v_fmac_f32_e32 v7, 0x3f575c64, v33
	v_fma_f32 v0, v33, s8, -v0
	v_add_f32_e32 v18, v7, v21
	v_mul_f32_e32 v7, 0x3f575c64, v35
	v_fma_f32 v6, v33, s4, -v6
	v_add_f32_e32 v0, v0, v8
	v_mov_b32_e32 v8, v7
	v_add_f32_e32 v10, v6, v10
	v_fmac_f32_e32 v7, 0x3f0a6770, v41
	v_mul_f32_e32 v6, 0xbf4178ce, v42
	v_add_f32_e32 v11, v7, v11
	v_mov_b32_e32 v7, v6
	v_fmac_f32_e32 v7, 0xbf27a4f4, v33
	v_add_f32_e32 v28, v20, v28
	v_fmac_f32_e32 v8, 0xbf0a6770, v41
	v_add_f32_e32 v20, v7, v23
	v_mul_f32_e32 v7, 0xbf27a4f4, v35
	v_add_f32_e32 v14, v14, v58
	v_add_f32_e32 v32, v19, v32
	;; [unrolled: 1-line block ×3, first 2 shown]
	v_mov_b32_e32 v8, v7
	v_add_f32_e32 v14, v14, v59
	v_fmac_f32_e32 v8, 0x3f4178ce, v41
	v_fma_f32 v6, v33, s7, -v6
	v_add_f32_e32 v14, v14, v60
	v_fmac_f32_e32 v1, 0xbe903f40, v41
	v_add_f32_e32 v21, v8, v29
	v_add_f32_e32 v8, v6, v34
	v_fmac_f32_e32 v7, 0xbf4178ce, v41
	v_mul_f32_e32 v6, 0x3f68dda4, v42
	v_add_f32_e32 v14, v14, v61
	v_add_f32_e32 v1, v1, v9
	;; [unrolled: 1-line block ×3, first 2 shown]
	v_mov_b32_e32 v7, v6
	v_fma_f32 v6, v33, s5, -v6
	v_add_f32_e32 v14, v14, v62
	v_fmac_f32_e32 v7, 0x3ed4b147, v33
	v_add_f32_e32 v6, v6, v26
	v_mul_f32_e32 v26, 0xbf7d64f0, v42
	v_add_f32_e32 v14, v14, v63
	v_add_f32_e32 v22, v7, v27
	v_mul_f32_e32 v7, 0x3ed4b147, v35
	v_mov_b32_e32 v24, v26
	v_fma_f32 v26, v33, s6, -v26
	v_add_f32_e32 v14, v14, v64
	v_mov_b32_e32 v23, v7
	v_mul_f32_e32 v27, 0xbe11bafb, v35
	v_add_f32_e32 v4, v26, v4
	s_movk_i32 s4, 0x5d8
	v_mov_b32_e32 v26, 3
	v_add_f32_e32 v14, v14, v65
	v_fmac_f32_e32 v23, 0xbf68dda4, v41
	v_mov_b32_e32 v25, v27
	v_mad_u32_u24 v12, v12, s4, 0
	v_lshlrev_b32_sdwa v13, v26, v13 dst_sel:DWORD dst_unused:UNUSED_PAD src0_sel:DWORD src1_sel:BYTE_0
	v_add_f32_e32 v14, v14, v66
	v_add_f32_e32 v23, v23, v31
	v_fmac_f32_e32 v7, 0x3f68dda4, v41
	v_fmac_f32_e32 v24, 0xbe11bafb, v33
	;; [unrolled: 1-line block ×4, first 2 shown]
	v_add3_u32 v12, v12, v13, v49
	v_add_f32_e32 v7, v7, v28
	v_add_f32_e32 v24, v24, v30
	;; [unrolled: 1-line block ×4, first 2 shown]
	ds_write2_b64 v12, v[14:15], v[16:17] offset1:17
	ds_write2_b64 v12, v[18:19], v[20:21] offset0:34 offset1:51
	ds_write2_b64 v12, v[22:23], v[24:25] offset0:68 offset1:85
	;; [unrolled: 1-line block ×4, first 2 shown]
	ds_write_b64 v12, v[0:1] offset:1360
	s_waitcnt lgkmcnt(0)
	s_barrier
	ds_read2_b64 v[16:19], v51 offset0:59 offset1:246
	ds_read2_b64 v[12:15], v52 offset0:49 offset1:236
	ds_read_b64 v[20:21], v50
	ds_read_b64 v[22:23], v48 offset:7480
	s_movk_i32 s4, 0x55
	v_cmp_gt_u32_e32 vcc, s4, v40
	s_and_saveexec_b64 s[4:5], vcc
	s_cbranch_execz .LBB0_25
; %bb.24:
	v_add_u32_e32 v0, 0x200, v48
	ds_read2_b64 v[4:7], v0 offset0:38 offset1:225
	v_add_u32_e32 v0, 0xe00, v48
	ds_read2_b64 v[8:11], v0 offset0:28 offset1:215
	;; [unrolled: 2-line block ×3, first 2 shown]
.LBB0_25:
	s_or_b64 exec, exec, s[4:5]
	v_mul_u32_u24_e32 v24, 5, v40
	v_lshlrev_b32_e32 v34, 3, v24
	global_load_dwordx4 v[24:27], v34, s[12:13] offset:1360
	global_load_dwordx4 v[28:31], v34, s[12:13] offset:1376
	global_load_dwordx2 v[32:33], v34, s[12:13] offset:1392
	v_add_u32_e32 v34, 0xa00, v48
	v_add_u32_e32 v35, 0x1600, v48
	s_waitcnt vmcnt(0) lgkmcnt(0)
	s_barrier
	v_mul_f32_e32 v41, v25, v17
	v_mul_f32_e32 v25, v25, v16
	;; [unrolled: 1-line block ×10, first 2 shown]
	v_fmac_f32_e32 v41, v24, v16
	v_fma_f32 v16, v24, v17, -v25
	v_fmac_f32_e32 v42, v26, v18
	v_fmac_f32_e32 v43, v28, v12
	v_fma_f32 v12, v28, v13, -v29
	v_fmac_f32_e32 v44, v30, v14
	v_fma_f32 v14, v32, v23, -v33
	v_fma_f32 v17, v26, v19, -v27
	;; [unrolled: 1-line block ×3, first 2 shown]
	v_fmac_f32_e32 v45, v32, v22
	v_add_f32_e32 v18, v42, v44
	v_sub_f32_e32 v26, v12, v14
	v_add_f32_e32 v27, v16, v12
	v_add_f32_e32 v12, v12, v14
	;; [unrolled: 1-line block ×3, first 2 shown]
	v_sub_f32_e32 v19, v17, v13
	v_add_f32_e32 v22, v21, v17
	v_add_f32_e32 v17, v17, v13
	;; [unrolled: 1-line block ×4, first 2 shown]
	v_sub_f32_e32 v28, v43, v45
	v_fma_f32 v18, -0.5, v18, v20
	v_fmac_f32_e32 v16, -0.5, v12
	v_add_f32_e32 v15, v15, v44
	v_add_f32_e32 v20, v22, v13
	v_fmac_f32_e32 v21, -0.5, v17
	v_add_f32_e32 v17, v24, v45
	v_fmac_f32_e32 v41, -0.5, v25
	v_add_f32_e32 v22, v27, v14
	v_mov_b32_e32 v24, v18
	v_mov_b32_e32 v29, v16
	v_fmac_f32_e32 v16, 0xbf5db3d7, v28
	v_sub_f32_e32 v23, v42, v44
	v_fmac_f32_e32 v18, 0x3f5db3d7, v19
	v_mov_b32_e32 v25, v21
	v_mov_b32_e32 v27, v41
	v_fmac_f32_e32 v41, 0x3f5db3d7, v26
	v_add_f32_e32 v12, v15, v17
	v_add_f32_e32 v13, v20, v22
	v_sub_f32_e32 v14, v15, v17
	v_sub_f32_e32 v15, v20, v22
	v_fmac_f32_e32 v24, 0xbf5db3d7, v19
	v_fmac_f32_e32 v29, 0x3f5db3d7, v28
	v_mul_f32_e32 v19, 0xbf5db3d7, v16
	v_mul_f32_e32 v20, -0.5, v16
	v_fmac_f32_e32 v21, 0xbf5db3d7, v23
	v_fmac_f32_e32 v25, 0x3f5db3d7, v23
	;; [unrolled: 1-line block ×3, first 2 shown]
	v_mul_f32_e32 v22, 0xbf5db3d7, v29
	v_fmac_f32_e32 v19, -0.5, v41
	v_mul_f32_e32 v23, 0.5, v29
	v_fmac_f32_e32 v20, 0x3f5db3d7, v41
	v_fmac_f32_e32 v22, 0.5, v27
	v_add_f32_e32 v16, v18, v19
	v_fmac_f32_e32 v23, 0x3f5db3d7, v27
	v_add_f32_e32 v17, v21, v20
	v_sub_f32_e32 v18, v18, v19
	v_sub_f32_e32 v19, v21, v20
	v_add_f32_e32 v20, v24, v22
	v_add_f32_e32 v21, v25, v23
	v_sub_f32_e32 v22, v24, v22
	v_sub_f32_e32 v23, v25, v23
	ds_write2_b64 v34, v[16:17], v[14:15] offset0:54 offset1:241
	ds_write2_b64 v48, v[12:13], v[20:21] offset1:187
	ds_write2_b64 v35, v[22:23], v[18:19] offset0:44 offset1:231
	s_and_saveexec_b64 s[4:5], vcc
	s_cbranch_execz .LBB0_27
; %bb.26:
	v_add_u32_e32 v12, 0x66, v40
	v_add_u32_e32 v13, 0xffffffab, v40
	v_cndmask_b32_e32 v12, v13, v12, vcc
	v_mul_i32_i24_e32 v12, 5, v12
	v_mov_b32_e32 v13, 0
	v_lshlrev_b64 v[12:13], 3, v[12:13]
	v_mov_b32_e32 v14, s13
	v_add_co_u32_e32 v20, vcc, s12, v12
	v_addc_co_u32_e32 v21, vcc, v14, v13, vcc
	global_load_dwordx4 v[12:15], v[20:21], off offset:1360
	global_load_dwordx4 v[16:19], v[20:21], off offset:1376
	global_load_dwordx2 v[22:23], v[20:21], off offset:1392
	v_add_u32_e32 v20, 0x200, v48
	v_add_u32_e32 v21, 0xe00, v48
	;; [unrolled: 1-line block ×3, first 2 shown]
	s_waitcnt vmcnt(2)
	v_mul_f32_e32 v25, v8, v15
	s_waitcnt vmcnt(1)
	v_mul_f32_e32 v26, v0, v19
	v_mul_f32_e32 v19, v1, v19
	v_mul_f32_e32 v28, v11, v17
	s_waitcnt vmcnt(0)
	v_mul_f32_e32 v29, v3, v23
	v_mul_f32_e32 v17, v10, v17
	;; [unrolled: 1-line block ×6, first 2 shown]
	v_fma_f32 v9, v9, v14, -v25
	v_fma_f32 v1, v1, v18, -v26
	v_fmac_f32_e32 v19, v0, v18
	v_fmac_f32_e32 v28, v10, v16
	;; [unrolled: 1-line block ×3, first 2 shown]
	v_fma_f32 v0, v11, v16, -v17
	v_fma_f32 v2, v3, v22, -v23
	v_fmac_f32_e32 v15, v8, v14
	v_fmac_f32_e32 v27, v6, v12
	v_fma_f32 v3, v7, v12, -v13
	v_add_f32_e32 v6, v9, v1
	v_add_f32_e32 v8, v28, v29
	;; [unrolled: 1-line block ×3, first 2 shown]
	v_sub_f32_e32 v12, v28, v29
	v_add_f32_e32 v13, v5, v9
	v_add_f32_e32 v14, v15, v19
	;; [unrolled: 1-line block ×3, first 2 shown]
	v_fma_f32 v6, -0.5, v6, v5
	v_fma_f32 v5, -0.5, v8, v27
	;; [unrolled: 1-line block ×3, first 2 shown]
	v_sub_f32_e32 v7, v15, v19
	v_sub_f32_e32 v10, v0, v2
	v_add_f32_e32 v0, v3, v0
	v_add_f32_e32 v15, v4, v15
	;; [unrolled: 1-line block ×3, first 2 shown]
	v_fma_f32 v11, -0.5, v14, v4
	v_add_f32_e32 v13, v16, v29
	v_mov_b32_e32 v14, v6
	v_mov_b32_e32 v16, v8
	v_fmac_f32_e32 v8, 0x3f5db3d7, v12
	v_sub_f32_e32 v9, v9, v1
	v_add_f32_e32 v4, v15, v19
	v_mov_b32_e32 v15, v5
	v_fmac_f32_e32 v6, 0x3f5db3d7, v7
	v_fmac_f32_e32 v5, 0xbf5db3d7, v10
	;; [unrolled: 1-line block ×4, first 2 shown]
	v_mul_f32_e32 v7, 0.5, v8
	v_mul_f32_e32 v8, 0xbf5db3d7, v8
	v_add_f32_e32 v2, v0, v2
	v_mov_b32_e32 v17, v11
	v_fmac_f32_e32 v11, 0xbf5db3d7, v9
	v_fmac_f32_e32 v15, 0x3f5db3d7, v10
	v_mul_f32_e32 v10, -0.5, v16
	v_fmac_f32_e32 v7, 0x3f5db3d7, v5
	v_mul_f32_e32 v12, 0xbf5db3d7, v16
	v_fmac_f32_e32 v8, 0.5, v5
	v_sub_f32_e32 v1, v3, v2
	v_add_f32_e32 v3, v3, v2
	v_add_f32_e32 v2, v4, v13
	v_fmac_f32_e32 v17, 0x3f5db3d7, v9
	v_fmac_f32_e32 v10, 0x3f5db3d7, v15
	v_sub_f32_e32 v5, v6, v7
	v_fmac_f32_e32 v12, -0.5, v15
	v_add_f32_e32 v7, v6, v7
	v_add_f32_e32 v6, v11, v8
	v_sub_f32_e32 v0, v4, v13
	v_sub_f32_e32 v4, v11, v8
	v_sub_f32_e32 v9, v14, v10
	v_sub_f32_e32 v8, v17, v12
	v_add_f32_e32 v11, v14, v10
	v_add_f32_e32 v10, v17, v12
	ds_write2_b64 v20, v[2:3], v[6:7] offset0:38 offset1:225
	ds_write2_b64 v21, v[10:11], v[0:1] offset0:28 offset1:215
	;; [unrolled: 1-line block ×3, first 2 shown]
.LBB0_27:
	s_or_b64 exec, exec, s[4:5]
	s_waitcnt lgkmcnt(0)
	s_barrier
	s_and_saveexec_b64 s[4:5], s[0:1]
	s_cbranch_execz .LBB0_29
; %bb.28:
	v_mul_lo_u32 v0, s3, v38
	v_mul_lo_u32 v1, s2, v39
	v_mad_u64_u32 v[4:5], s[0:1], s2, v38, 0
	v_mov_b32_e32 v7, s11
	v_lshl_add_u32 v6, v40, 3, v47
	v_add3_u32 v5, v5, v1, v0
	v_lshlrev_b64 v[4:5], 3, v[4:5]
	v_mov_b32_e32 v41, 0
	v_add_co_u32_e32 v8, vcc, s10, v4
	v_addc_co_u32_e32 v7, vcc, v7, v5, vcc
	v_lshlrev_b64 v[4:5], 3, v[36:37]
	ds_read2_b64 v[0:3], v6 offset1:102
	v_add_co_u32_e32 v8, vcc, v8, v4
	v_addc_co_u32_e32 v7, vcc, v7, v5, vcc
	v_lshlrev_b64 v[4:5], 3, v[40:41]
	v_add_co_u32_e32 v4, vcc, v8, v4
	v_addc_co_u32_e32 v5, vcc, v7, v5, vcc
	s_waitcnt lgkmcnt(0)
	global_store_dwordx2 v[4:5], v[0:1], off
	v_add_u32_e32 v0, 0x66, v40
	v_mov_b32_e32 v1, v41
	v_lshlrev_b64 v[0:1], 3, v[0:1]
	v_add_u32_e32 v4, 0xcc, v40
	v_add_co_u32_e32 v0, vcc, v8, v0
	v_addc_co_u32_e32 v1, vcc, v7, v1, vcc
	global_store_dwordx2 v[0:1], v[2:3], off
	v_add_u32_e32 v0, 0x400, v6
	v_mov_b32_e32 v5, v41
	ds_read2_b64 v[0:3], v0 offset0:76 offset1:178
	v_lshlrev_b64 v[4:5], 3, v[4:5]
	v_add_co_u32_e32 v4, vcc, v8, v4
	v_addc_co_u32_e32 v5, vcc, v7, v5, vcc
	s_waitcnt lgkmcnt(0)
	global_store_dwordx2 v[4:5], v[0:1], off
	v_add_u32_e32 v0, 0x132, v40
	v_mov_b32_e32 v1, v41
	v_lshlrev_b64 v[0:1], 3, v[0:1]
	v_add_u32_e32 v4, 0x198, v40
	v_add_co_u32_e32 v0, vcc, v8, v0
	v_addc_co_u32_e32 v1, vcc, v7, v1, vcc
	global_store_dwordx2 v[0:1], v[2:3], off
	v_add_u32_e32 v0, 0x800, v6
	v_mov_b32_e32 v5, v41
	ds_read2_b64 v[0:3], v0 offset0:152 offset1:254
	;; [unrolled: 15-line block ×4, first 2 shown]
	v_lshlrev_b64 v[4:5], 3, v[4:5]
	v_add_co_u32_e32 v4, vcc, v8, v4
	v_addc_co_u32_e32 v5, vcc, v7, v5, vcc
	s_waitcnt lgkmcnt(0)
	global_store_dwordx2 v[4:5], v[0:1], off
	v_add_u32_e32 v0, 0x396, v40
	v_mov_b32_e32 v1, v41
	v_lshlrev_b64 v[0:1], 3, v[0:1]
	v_add_u32_e32 v40, 0x3fc, v40
	v_add_co_u32_e32 v0, vcc, v8, v0
	v_addc_co_u32_e32 v1, vcc, v7, v1, vcc
	global_store_dwordx2 v[0:1], v[2:3], off
	ds_read_b64 v[0:1], v6 offset:8160
	v_lshlrev_b64 v[2:3], 3, v[40:41]
	v_add_co_u32_e32 v2, vcc, v8, v2
	v_addc_co_u32_e32 v3, vcc, v7, v3, vcc
	s_waitcnt lgkmcnt(0)
	global_store_dwordx2 v[2:3], v[0:1], off
.LBB0_29:
	s_endpgm
	.section	.rodata,"a",@progbits
	.p2align	6, 0x0
	.amdhsa_kernel fft_rtc_back_len1122_factors_17_11_6_wgs_204_tpt_102_halfLds_sp_op_CI_CI_unitstride_sbrr_C2R_dirReg
		.amdhsa_group_segment_fixed_size 0
		.amdhsa_private_segment_fixed_size 0
		.amdhsa_kernarg_size 104
		.amdhsa_user_sgpr_count 6
		.amdhsa_user_sgpr_private_segment_buffer 1
		.amdhsa_user_sgpr_dispatch_ptr 0
		.amdhsa_user_sgpr_queue_ptr 0
		.amdhsa_user_sgpr_kernarg_segment_ptr 1
		.amdhsa_user_sgpr_dispatch_id 0
		.amdhsa_user_sgpr_flat_scratch_init 0
		.amdhsa_user_sgpr_private_segment_size 0
		.amdhsa_uses_dynamic_stack 0
		.amdhsa_system_sgpr_private_segment_wavefront_offset 0
		.amdhsa_system_sgpr_workgroup_id_x 1
		.amdhsa_system_sgpr_workgroup_id_y 0
		.amdhsa_system_sgpr_workgroup_id_z 0
		.amdhsa_system_sgpr_workgroup_info 0
		.amdhsa_system_vgpr_workitem_id 0
		.amdhsa_next_free_vgpr 168
		.amdhsa_next_free_sgpr 28
		.amdhsa_reserve_vcc 1
		.amdhsa_reserve_flat_scratch 0
		.amdhsa_float_round_mode_32 0
		.amdhsa_float_round_mode_16_64 0
		.amdhsa_float_denorm_mode_32 3
		.amdhsa_float_denorm_mode_16_64 3
		.amdhsa_dx10_clamp 1
		.amdhsa_ieee_mode 1
		.amdhsa_fp16_overflow 0
		.amdhsa_exception_fp_ieee_invalid_op 0
		.amdhsa_exception_fp_denorm_src 0
		.amdhsa_exception_fp_ieee_div_zero 0
		.amdhsa_exception_fp_ieee_overflow 0
		.amdhsa_exception_fp_ieee_underflow 0
		.amdhsa_exception_fp_ieee_inexact 0
		.amdhsa_exception_int_div_zero 0
	.end_amdhsa_kernel
	.text
.Lfunc_end0:
	.size	fft_rtc_back_len1122_factors_17_11_6_wgs_204_tpt_102_halfLds_sp_op_CI_CI_unitstride_sbrr_C2R_dirReg, .Lfunc_end0-fft_rtc_back_len1122_factors_17_11_6_wgs_204_tpt_102_halfLds_sp_op_CI_CI_unitstride_sbrr_C2R_dirReg
                                        ; -- End function
	.section	.AMDGPU.csdata,"",@progbits
; Kernel info:
; codeLenInByte = 11828
; NumSgprs: 32
; NumVgprs: 168
; ScratchSize: 0
; MemoryBound: 0
; FloatMode: 240
; IeeeMode: 1
; LDSByteSize: 0 bytes/workgroup (compile time only)
; SGPRBlocks: 3
; VGPRBlocks: 41
; NumSGPRsForWavesPerEU: 32
; NumVGPRsForWavesPerEU: 168
; Occupancy: 1
; WaveLimiterHint : 1
; COMPUTE_PGM_RSRC2:SCRATCH_EN: 0
; COMPUTE_PGM_RSRC2:USER_SGPR: 6
; COMPUTE_PGM_RSRC2:TRAP_HANDLER: 0
; COMPUTE_PGM_RSRC2:TGID_X_EN: 1
; COMPUTE_PGM_RSRC2:TGID_Y_EN: 0
; COMPUTE_PGM_RSRC2:TGID_Z_EN: 0
; COMPUTE_PGM_RSRC2:TIDIG_COMP_CNT: 0
	.type	__hip_cuid_f7c120c7c666cbe1,@object ; @__hip_cuid_f7c120c7c666cbe1
	.section	.bss,"aw",@nobits
	.globl	__hip_cuid_f7c120c7c666cbe1
__hip_cuid_f7c120c7c666cbe1:
	.byte	0                               ; 0x0
	.size	__hip_cuid_f7c120c7c666cbe1, 1

	.ident	"AMD clang version 19.0.0git (https://github.com/RadeonOpenCompute/llvm-project roc-6.4.0 25133 c7fe45cf4b819c5991fe208aaa96edf142730f1d)"
	.section	".note.GNU-stack","",@progbits
	.addrsig
	.addrsig_sym __hip_cuid_f7c120c7c666cbe1
	.amdgpu_metadata
---
amdhsa.kernels:
  - .args:
      - .actual_access:  read_only
        .address_space:  global
        .offset:         0
        .size:           8
        .value_kind:     global_buffer
      - .offset:         8
        .size:           8
        .value_kind:     by_value
      - .actual_access:  read_only
        .address_space:  global
        .offset:         16
        .size:           8
        .value_kind:     global_buffer
      - .actual_access:  read_only
        .address_space:  global
        .offset:         24
        .size:           8
        .value_kind:     global_buffer
      - .actual_access:  read_only
        .address_space:  global
        .offset:         32
        .size:           8
        .value_kind:     global_buffer
      - .offset:         40
        .size:           8
        .value_kind:     by_value
      - .actual_access:  read_only
        .address_space:  global
        .offset:         48
        .size:           8
        .value_kind:     global_buffer
      - .actual_access:  read_only
        .address_space:  global
        .offset:         56
        .size:           8
        .value_kind:     global_buffer
      - .offset:         64
        .size:           4
        .value_kind:     by_value
      - .actual_access:  read_only
        .address_space:  global
        .offset:         72
        .size:           8
        .value_kind:     global_buffer
      - .actual_access:  read_only
        .address_space:  global
        .offset:         80
        .size:           8
        .value_kind:     global_buffer
      - .actual_access:  read_only
        .address_space:  global
        .offset:         88
        .size:           8
        .value_kind:     global_buffer
      - .actual_access:  write_only
        .address_space:  global
        .offset:         96
        .size:           8
        .value_kind:     global_buffer
    .group_segment_fixed_size: 0
    .kernarg_segment_align: 8
    .kernarg_segment_size: 104
    .language:       OpenCL C
    .language_version:
      - 2
      - 0
    .max_flat_workgroup_size: 204
    .name:           fft_rtc_back_len1122_factors_17_11_6_wgs_204_tpt_102_halfLds_sp_op_CI_CI_unitstride_sbrr_C2R_dirReg
    .private_segment_fixed_size: 0
    .sgpr_count:     32
    .sgpr_spill_count: 0
    .symbol:         fft_rtc_back_len1122_factors_17_11_6_wgs_204_tpt_102_halfLds_sp_op_CI_CI_unitstride_sbrr_C2R_dirReg.kd
    .uniform_work_group_size: 1
    .uses_dynamic_stack: false
    .vgpr_count:     168
    .vgpr_spill_count: 0
    .wavefront_size: 64
amdhsa.target:   amdgcn-amd-amdhsa--gfx906
amdhsa.version:
  - 1
  - 2
...

	.end_amdgpu_metadata
